;; amdgpu-corpus repo=ROCm/rocFFT kind=compiled arch=gfx1201 opt=O3
	.text
	.amdgcn_target "amdgcn-amd-amdhsa--gfx1201"
	.amdhsa_code_object_version 6
	.protected	bluestein_single_back_len595_dim1_sp_op_CI_CI ; -- Begin function bluestein_single_back_len595_dim1_sp_op_CI_CI
	.globl	bluestein_single_back_len595_dim1_sp_op_CI_CI
	.p2align	8
	.type	bluestein_single_back_len595_dim1_sp_op_CI_CI,@function
bluestein_single_back_len595_dim1_sp_op_CI_CI: ; @bluestein_single_back_len595_dim1_sp_op_CI_CI
; %bb.0:
	s_load_b128 s[16:19], s[0:1], 0x28
	v_mul_u32_u24_e32 v1, 0xf10, v0
	s_mov_b32 s2, exec_lo
	s_delay_alu instid0(VALU_DEP_1) | instskip(NEXT) | instid1(VALU_DEP_1)
	v_lshrrev_b32_e32 v1, 16, v1
	v_mad_co_u64_u32 v[74:75], null, ttmp9, 3, v[1:2]
	v_mov_b32_e32 v75, 0
                                        ; kill: def $vgpr2 killed $sgpr0 killed $exec
	s_wait_kmcnt 0x0
	s_delay_alu instid0(VALU_DEP_1)
	v_cmpx_gt_u64_e64 s[16:17], v[74:75]
	s_cbranch_execz .LBB0_10
; %bb.1:
	s_clause 0x1
	s_load_b128 s[8:11], s[0:1], 0x18
	s_load_b128 s[4:7], s[0:1], 0x0
	v_mul_lo_u16 v1, v1, 17
	s_movk_i32 s2, 0xf098
	s_mov_b32 s3, -1
                                        ; implicit-def: $vgpr198
	s_delay_alu instid0(VALU_DEP_1) | instskip(NEXT) | instid1(VALU_DEP_1)
	v_sub_nc_u16 v12, v0, v1
	v_and_b32_e32 v117, 0xffff, v12
	s_delay_alu instid0(VALU_DEP_1)
	v_or_b32_e32 v8, 0x220, v117
	s_wait_kmcnt 0x0
	s_load_b128 s[12:15], s[8:9], 0x0
	s_wait_kmcnt 0x0
	v_mad_co_u64_u32 v[0:1], null, s14, v74, 0
	v_mad_co_u64_u32 v[2:3], null, s12, v117, 0
	s_mul_u64 s[8:9], s[12:13], 0x2a8
	s_mul_u64 s[2:3], s[12:13], s[2:3]
	s_delay_alu instid0(VALU_DEP_1) | instskip(NEXT) | instid1(VALU_DEP_1)
	v_mad_co_u64_u32 v[4:5], null, s15, v74, v[1:2]
	v_mad_co_u64_u32 v[5:6], null, s13, v117, v[3:4]
	v_mov_b32_e32 v1, v4
	v_mad_co_u64_u32 v[6:7], null, s12, v8, 0
	s_delay_alu instid0(VALU_DEP_2) | instskip(NEXT) | instid1(VALU_DEP_4)
	v_lshlrev_b64_e32 v[0:1], 3, v[0:1]
	v_mov_b32_e32 v3, v5
	s_delay_alu instid0(VALU_DEP_2) | instskip(NEXT) | instid1(VALU_DEP_2)
	v_add_co_u32 v16, vcc_lo, s18, v0
	v_lshlrev_b64_e32 v[2:3], 3, v[2:3]
	s_delay_alu instid0(VALU_DEP_4)
	v_add_co_ci_u32_e32 v17, vcc_lo, s19, v1, vcc_lo
	v_dual_mov_b32 v0, v7 :: v_dual_lshlrev_b32 v13, 3, v117
	s_clause 0x7
	global_load_b64 v[138:139], v13, s[4:5] offset:2040
	global_load_b64 v[144:145], v13, s[4:5] offset:1360
	;; [unrolled: 1-line block ×8, first 2 shown]
	v_add_co_u32 v1, vcc_lo, v16, v2
	s_wait_alu 0xfffd
	v_add_co_ci_u32_e32 v2, vcc_lo, v17, v3, vcc_lo
	s_clause 0x9
	global_load_b64 v[140:141], v13, s[4:5] offset:3400
	global_load_b64 v[122:123], v13, s[4:5] offset:3536
	;; [unrolled: 1-line block ×3, first 2 shown]
	global_load_b64 v[146:147], v13, s[4:5]
	global_load_b64 v[134:135], v13, s[4:5] offset:136
	global_load_b64 v[118:119], v13, s[4:5] offset:272
	;; [unrolled: 1-line block ×6, first 2 shown]
	v_mad_co_u64_u32 v[3:4], null, s13, v8, v[0:1]
	v_add_co_u32 v4, vcc_lo, v1, s8
	s_wait_alu 0xfffd
	v_add_co_ci_u32_e32 v5, vcc_lo, s9, v2, vcc_lo
	s_clause 0x8
	global_load_b64 v[142:143], v13, s[4:5] offset:2720
	global_load_b64 v[124:125], v13, s[4:5] offset:2856
	;; [unrolled: 1-line block ×9, first 2 shown]
	scratch_store_b32 off, v8, off offset:4 ; 4-byte Folded Spill
	v_add_co_u32 v8, vcc_lo, v4, s8
	s_wait_alu 0xfffd
	v_add_co_ci_u32_e32 v9, vcc_lo, s9, v5, vcc_lo
	v_mov_b32_e32 v7, v3
	s_delay_alu instid0(VALU_DEP_3) | instskip(SKIP_1) | instid1(VALU_DEP_3)
	v_add_co_u32 v10, vcc_lo, v8, s8
	s_wait_alu 0xfffd
	v_add_co_ci_u32_e32 v11, vcc_lo, s9, v9, vcc_lo
	s_delay_alu instid0(VALU_DEP_3) | instskip(NEXT) | instid1(VALU_DEP_3)
	v_lshlrev_b64_e32 v[6:7], 3, v[6:7]
	v_add_co_u32 v14, vcc_lo, v10, s8
	s_wait_alu 0xfffd
	s_delay_alu instid0(VALU_DEP_3)
	v_add_co_ci_u32_e32 v15, vcc_lo, s9, v11, vcc_lo
	global_load_b64 v[0:1], v[1:2], off
	v_add_co_u32 v6, vcc_lo, v16, v6
	s_wait_alu 0xfffd
	v_add_co_ci_u32_e32 v7, vcc_lo, v17, v7, vcc_lo
	v_add_co_u32 v16, vcc_lo, v14, s8
	s_wait_alu 0xfffd
	v_add_co_ci_u32_e32 v17, vcc_lo, s9, v15, vcc_lo
	global_load_b64 v[6:7], v[6:7], off
	v_add_co_u32 v2, vcc_lo, v16, s8
	s_wait_alu 0xfffd
	v_add_co_ci_u32_e32 v3, vcc_lo, s9, v17, vcc_lo
	s_clause 0x2
	global_load_b64 v[4:5], v[4:5], off
	global_load_b64 v[8:9], v[8:9], off
	;; [unrolled: 1-line block ×3, first 2 shown]
	v_add_co_u32 v18, vcc_lo, v2, s2
	s_wait_alu 0xfffd
	v_add_co_ci_u32_e32 v19, vcc_lo, s3, v3, vcc_lo
	global_load_b64 v[22:23], v[14:15], off
	v_add_co_u32 v20, vcc_lo, v18, s8
	s_wait_alu 0xfffd
	v_add_co_ci_u32_e32 v21, vcc_lo, s9, v19, vcc_lo
	s_mulk_i32 s13, 0xf340
	s_delay_alu instid0(VALU_DEP_2) | instskip(SKIP_1) | instid1(VALU_DEP_2)
	v_add_co_u32 v14, vcc_lo, v20, s8
	s_wait_alu 0xfffd
	v_add_co_ci_u32_e32 v15, vcc_lo, s9, v21, vcc_lo
	global_load_b64 v[16:17], v[16:17], off
	v_add_co_u32 v24, vcc_lo, v14, s8
	s_wait_alu 0xfffd
	v_add_co_ci_u32_e32 v25, vcc_lo, s9, v15, vcc_lo
	global_load_b64 v[32:33], v[14:15], off
	;; [unrolled: 4-line block ×10, first 2 shown]
	v_add_co_u32 v14, vcc_lo, v40, s8
	s_wait_alu 0xfffd
	v_add_co_ci_u32_e32 v15, vcc_lo, s9, v41, vcc_lo
	s_clause 0x1
	global_load_b64 v[97:98], v13, s[4:5] offset:1224
	global_load_b64 v[83:84], v13, s[4:5] offset:1904
	global_load_b64 v[34:35], v[34:35], off
	s_clause 0x2
	global_load_b64 v[128:129], v13, s[4:5] offset:2312
	global_load_b64 v[107:108], v13, s[4:5] offset:2448
	;; [unrolled: 1-line block ×3, first 2 shown]
	global_load_b64 v[36:37], v[36:37], off
	global_load_b64 v[89:90], v13, s[4:5] offset:3264
	v_mad_co_u64_u32 v[44:45], null, 0xfffff340, s12, v[14:15]
	s_wait_alu 0xfffe
	s_sub_co_i32 s12, s13, s12
	global_load_b64 v[38:39], v[38:39], off
	global_load_b64 v[40:41], v[40:41], off
	;; [unrolled: 1-line block ×3, first 2 shown]
	v_add_co_u32 v197, null, v117, 34
	s_wait_alu 0xfffe
	v_add_nc_u32_e32 v45, s12, v45
	v_add_co_u32 v14, vcc_lo, v44, s8
	s_wait_loadcnt 0x19
	v_dual_mul_f32 v75, v0, v147 :: v_dual_mul_f32 v76, v7, v80
	s_wait_alu 0xfffd
	v_add_co_ci_u32_e32 v15, vcc_lo, s9, v45, vcc_lo
	v_add_co_u32 v48, vcc_lo, v14, s8
	global_load_b64 v[44:45], v[44:45], off
	s_wait_alu 0xfffd
	v_add_co_ci_u32_e32 v49, vcc_lo, s9, v15, vcc_lo
	global_load_b64 v[50:51], v[14:15], off
	v_add_co_u32 v14, vcc_lo, v48, s8
	s_wait_alu 0xfffd
	v_add_co_ci_u32_e32 v15, vcc_lo, s9, v49, vcc_lo
	global_load_b64 v[48:49], v[48:49], off
	v_add_co_u32 v52, vcc_lo, v14, s8
	;; [unrolled: 4-line block ×11, first 2 shown]
	s_wait_alu 0xfffd
	v_add_co_ci_u32_e32 v15, vcc_lo, s9, v69, vcc_lo
	global_load_b64 v[95:96], v13, s[4:5] offset:3944
	global_load_b64 v[68:69], v[68:69], off
	global_load_b64 v[99:100], v13, s[4:5] offset:4624
	global_load_b64 v[72:73], v[14:15], off
	v_mul_hi_u32 v14, 0xaaaaaaab, v74
	v_mov_b32_e32 v15, v74
	v_mul_f32_e32 v77, v6, v80
	s_load_b64 s[8:9], s[0:1], 0x38
	v_add_co_u32 v208, s0, v117, 17
	s_clause 0x2
	scratch_store_b64 off, v[79:80], off offset:128
	scratch_store_b64 off, v[146:147], off offset:280
	;; [unrolled: 1-line block ×3, first 2 shown]
	v_lshrrev_b32_e32 v14, 1, v14
	s_clause 0x2
	scratch_store_b64 off, v[144:145], off offset:272
	scratch_store_b64 off, v[138:139], off offset:248
	;; [unrolled: 1-line block ×3, first 2 shown]
	v_cmp_eq_u16_e32 vcc_lo, 0, v12
	v_lshl_add_u32 v14, v14, 1, v14
	v_fmac_f32_e32 v76, v6, v79
	s_wait_loadcnt 0x27
	v_mul_f32_e32 v6, v9, v145
	v_fma_f32 v75, v1, v146, -v75
	s_wait_loadcnt 0x25
	v_mul_f32_e32 v80, v22, v143
	v_sub_nc_u32_e32 v14, v74, v14
	v_dual_mul_f32 v74, v1, v147 :: v_dual_mul_f32 v1, v4, v149
	v_fmac_f32_e32 v6, v8, v144
	s_delay_alu instid0(VALU_DEP_3) | instskip(NEXT) | instid1(VALU_DEP_3)
	v_mul_u32_u24_e32 v14, 0x253, v14
	v_fmac_f32_e32 v74, v0, v146
	s_wait_loadcnt 0x24
	scratch_store_b64 off, v[15:16], off offset:160 ; 8-byte Folded Spill
	v_mul_f32_e32 v0, v5, v149
	v_fma_f32 v1, v5, v148, -v1
	v_dual_mul_f32 v5, v8, v145 :: v_dual_lshlrev_b32 v196, 3, v14
	v_mul_f32_e32 v8, v23, v143
	s_delay_alu instid0(VALU_DEP_4) | instskip(NEXT) | instid1(VALU_DEP_3)
	v_fmac_f32_e32 v0, v4, v148
	v_dual_mul_f32 v4, v11, v139 :: v_dual_add_nc_u32 v255, v13, v196
	v_fma_f32 v77, v7, v79, -v77
	v_mul_f32_e32 v79, v10, v139
	v_fma_f32 v7, v9, v144, -v5
	s_delay_alu instid0(VALU_DEP_4) | instskip(SKIP_1) | instid1(VALU_DEP_4)
	v_dual_fmac_f32 v4, v10, v138 :: v_dual_add_nc_u32 v15, 0x800, v255
	v_fmac_f32_e32 v8, v22, v142
	v_fma_f32 v5, v11, v138, -v79
	v_fma_f32 v9, v23, v142, -v80
	v_mul_f32_e32 v10, v17, v141
	v_mul_f32_e32 v11, v16, v141
	s_wait_alu 0xf1ff
	v_add_co_ci_u32_e64 v14, null, 0, 0, s0
	s_load_b128 s[0:3], s[10:11], 0x0
	ds_store_b64 v255, v[0:1] offset:680
	ds_store_b64 v255, v[6:7] offset:1360
	ds_store_b64 v255, v[4:5] offset:2040
	ds_store_b64 v255, v[8:9] offset:2720
	s_wait_loadcnt 0x21
	v_dual_mul_f32 v5, v18, v135 :: v_dual_mul_f32 v0, v3, v137
	v_dual_mul_f32 v1, v2, v137 :: v_dual_fmac_f32 v10, v16, v140
	s_wait_loadcnt 0x1d
	v_dual_mul_f32 v9, v26, v125 :: v_dual_mul_f32 v4, v19, v135
	v_fma_f32 v11, v17, v140, -v11
	v_dual_fmac_f32 v0, v2, v136 :: v_dual_mul_f32 v7, v24, v127
	v_fma_f32 v1, v3, v136, -v1
	s_clause 0x2
	scratch_store_b64 off, v[140:141], off offset:256
	scratch_store_b64 off, v[136:137], off offset:240
	;; [unrolled: 1-line block ×3, first 2 shown]
	v_fma_f32 v5, v19, v134, -v5
	v_dual_mul_f32 v2, v21, v133 :: v_dual_mul_f32 v17, v42, v119
	ds_store_b64 v255, v[10:11] offset:3400
	ds_store_b64 v255, v[0:1] offset:4080
	v_dual_mul_f32 v1, v20, v133 :: v_dual_mul_f32 v0, v33, v131
	s_wait_loadcnt 0x18
	v_dual_mul_f32 v19, v34, v112 :: v_dual_mul_f32 v10, v31, v121
	v_mul_f32_e32 v11, v30, v121
	v_fmac_f32_e32 v4, v18, v134
	v_mul_f32_e32 v18, v35, v112
	v_add_nc_u32_e32 v14, 0x1000, v255
	v_fmac_f32_e32 v2, v20, v132
	v_fma_f32 v3, v21, v132, -v1
	v_fmac_f32_e32 v10, v30, v120
	v_fma_f32 v11, v31, v120, -v11
	;; [unrolled: 2-line block ×3, first 2 shown]
	ds_store_2addr_b64 v255, v[74:75], v[4:5] offset1:17
	v_mul_f32_e32 v5, v32, v131
	s_wait_loadcnt 0x14
	v_dual_mul_f32 v4, v25, v127 :: v_dual_mul_f32 v21, v36, v116
	ds_store_2addr_b64 v14, v[10:11], v[76:77] offset0:15 offset1:32
	s_wait_loadcnt 0x12
	v_mul_f32_e32 v10, v39, v129
	ds_store_2addr_b64 v255, v[2:3], v[18:19] offset0:102 offset1:119
	v_mul_f32_e32 v3, v38, v129
	v_fma_f32 v1, v33, v130, -v5
	v_fmac_f32_e32 v4, v24, v126
	v_fma_f32 v5, v25, v126, -v7
	v_mul_f32_e32 v20, v37, v116
	v_fmac_f32_e32 v10, v38, v128
	v_fma_f32 v11, v39, v128, -v3
	v_fmac_f32_e32 v0, v32, v130
	v_fma_f32 v21, v37, v115, -v21
	v_mul_f32_e32 v6, v27, v125
	s_wait_loadcnt 0x11
	v_mul_f32_e32 v2, v41, v114
	ds_store_2addr_b64 v15, v[4:5], v[10:11] offset0:16 offset1:33
	s_wait_loadcnt 0x10
	v_dual_mul_f32 v8, v29, v123 :: v_dual_mul_f32 v19, v46, v110
	v_fma_f32 v7, v27, v124, -v9
	v_mul_f32_e32 v9, v28, v123
	v_mul_f32_e32 v16, v43, v119
	s_delay_alu instid0(VALU_DEP_4)
	v_fmac_f32_e32 v8, v28, v122
	s_clause 0x2
	scratch_store_b64 off, v[132:133], off offset:224
	scratch_store_b64 off, v[126:127], off offset:200
	;; [unrolled: 1-line block ×3, first 2 shown]
	v_fma_f32 v9, v29, v122, -v9
	s_clause 0x5
	scratch_store_b64 off, v[130:131], off offset:216
	scratch_store_b64 off, v[124:125], off offset:192
	;; [unrolled: 1-line block ×6, first 2 shown]
	v_fma_f32 v17, v43, v118, -v17
	s_clause 0x3
	scratch_store_b64 off, v[111:112], off offset:136
	scratch_store_b64 off, v[113:114], off offset:144
	;; [unrolled: 1-line block ×4, first 2 shown]
	v_add_nc_u32_e32 v78, 0xc00, v255
                                        ; implicit-def: $vgpr126
	s_wait_loadcnt 0xf
	v_mul_f32_e32 v18, v45, v106
	s_wait_loadcnt 0xc
	s_delay_alu instid0(VALU_DEP_1) | instskip(SKIP_1) | instid1(VALU_DEP_2)
	v_dual_fmac_f32 v18, v44, v105 :: v_dual_mul_f32 v5, v54, v108
	v_mul_f32_e32 v4, v55, v108
	v_fma_f32 v5, v55, v107, -v5
	s_delay_alu instid0(VALU_DEP_2) | instskip(SKIP_4) | instid1(VALU_DEP_2)
	v_fmac_f32_e32 v4, v54, v107
	s_wait_loadcnt 0x9
	v_mul_f32_e32 v10, v57, v82
	s_wait_loadcnt 0x8
	v_dual_mul_f32 v11, v62, v86 :: v_dual_fmac_f32 v20, v36, v115
	v_fmac_f32_e32 v10, v56, v81
	ds_store_2addr_b64 v255, v[0:1], v[20:21] offset0:187 offset1:204
	v_mul_f32_e32 v1, v40, v114
	v_mul_f32_e32 v0, v47, v110
	v_fmac_f32_e32 v6, v26, v124
	v_mul_f32_e32 v20, v44, v106
	s_delay_alu instid0(VALU_DEP_4) | instskip(NEXT) | instid1(VALU_DEP_4)
	v_fma_f32 v3, v41, v113, -v1
	v_fmac_f32_e32 v0, v46, v109
	v_fma_f32 v1, v47, v109, -v19
	s_delay_alu instid0(VALU_DEP_4)
	v_fma_f32 v19, v45, v105, -v20
	v_mul_f32_e32 v20, v56, v82
	s_wait_loadcnt 0x2
	v_mul_f32_e32 v21, v68, v96
	s_wait_loadcnt 0x0
	v_mul_f32_e32 v23, v72, v100
	v_fmac_f32_e32 v2, v40, v113
	ds_store_2addr_b64 v15, v[6:7], v[2:3] offset0:101 offset1:118
	ds_store_2addr_b64 v15, v[8:9], v[0:1] offset0:186 offset1:203
	v_dual_mul_f32 v3, v48, v104 :: v_dual_fmac_f32 v16, v42, v118
	v_dual_mul_f32 v7, v52, v88 :: v_dual_mul_f32 v0, v51, v102
	v_dual_mul_f32 v1, v50, v102 :: v_dual_mul_f32 v2, v49, v104
	ds_store_2addr_b64 v255, v[16:17], v[18:19] offset0:34 offset1:51
	v_mul_f32_e32 v16, v63, v86
	v_mul_f32_e32 v18, v61, v98
	;; [unrolled: 1-line block ×3, first 2 shown]
	v_fma_f32 v17, v63, v85, -v11
	v_fmac_f32_e32 v0, v50, v101
	v_fmac_f32_e32 v16, v62, v85
	v_fma_f32 v1, v51, v101, -v1
	v_fmac_f32_e32 v18, v60, v97
	v_fma_f32 v19, v61, v97, -v19
	v_mul_f32_e32 v6, v53, v88
	ds_store_b64 v255, v[16:17] offset:544
	v_mul_f32_e32 v16, v67, v84
	v_mul_f32_e32 v17, v66, v84
	ds_store_2addr_b64 v255, v[0:1], v[18:19] offset0:136 offset1:153
	v_mul_f32_e32 v0, v65, v92
	v_dual_mul_f32 v1, v64, v92 :: v_dual_mul_f32 v18, v71, v90
	v_mul_f32_e32 v19, v70, v90
	v_mul_f32_e32 v8, v59, v94
	;; [unrolled: 1-line block ×3, first 2 shown]
	v_fma_f32 v11, v57, v81, -v20
	v_mul_f32_e32 v20, v69, v96
	v_mul_f32_e32 v22, v73, v100
	v_fmac_f32_e32 v2, v48, v103
	v_fma_f32 v3, v49, v103, -v3
	v_fmac_f32_e32 v16, v66, v83
	v_fma_f32 v17, v67, v83, -v17
	;; [unrolled: 2-line block ×8, first 2 shown]
	s_clause 0xc
	scratch_store_b64 off, v[103:104], off offset:96
	scratch_store_b64 off, v[107:108], off offset:112
	;; [unrolled: 1-line block ×13, first 2 shown]
	ds_store_2addr_b64 v255, v[2:3], v[16:17] offset0:221 offset1:238
	ds_store_2addr_b64 v15, v[4:5], v[0:1] offset0:50 offset1:67
	;; [unrolled: 1-line block ×5, first 2 shown]
	global_wb scope:SCOPE_SE
	s_wait_storecnt_dscnt 0x0
	s_wait_kmcnt 0x0
	s_barrier_signal -1
	s_barrier_wait -1
	global_inv scope:SCOPE_SE
	ds_load_2addr_b64 v[0:3], v255 offset0:68 offset1:85
	ds_load_2addr_b64 v[16:19], v78 offset0:126 offset1:143
	;; [unrolled: 1-line block ×4, first 2 shown]
	scratch_store_b32 off, v117, off        ; 4-byte Folded Spill
	ds_load_2addr_b64 v[24:27], v255 offset1:17
	ds_load_2addr_b64 v[8:11], v255 offset0:238 offset1:255
	ds_load_2addr_b64 v[28:31], v15 offset0:84 offset1:101
	;; [unrolled: 1-line block ×12, first 2 shown]
	ds_load_b64 v[72:73], v255 offset:4624
	v_add_co_u32 v102, null, v117, 51
	v_add_co_u32 v101, null, 0x44, v117
	global_wb scope:SCOPE_SE
	s_wait_storecnt_dscnt 0x0
	s_barrier_signal -1
	s_barrier_wait -1
	global_inv scope:SCOPE_SE
	v_add_f32_e32 v75, v3, v17
	v_sub_f32_e32 v3, v3, v17
	v_add_f32_e32 v17, v21, v7
	v_sub_f32_e32 v7, v21, v7
	;; [unrolled: 2-line block ×9, first 2 shown]
	v_dual_add_f32 v53, v17, v75 :: v_dual_add_f32 v74, v2, v16
	s_delay_alu instid0(VALU_DEP_3) | instskip(NEXT) | instid1(VALU_DEP_3)
	v_dual_sub_f32 v2, v2, v16 :: v_dual_sub_f32 v97, v49, v35
	v_dual_add_f32 v16, v20, v6 :: v_dual_add_f32 v99, v39, v43
	v_dual_sub_f32 v6, v20, v6 :: v_dual_sub_f32 v77, v17, v75
	v_sub_f32_e32 v75, v75, v21
	v_sub_f32_e32 v17, v21, v17
	v_add_f32_e32 v21, v21, v53
	v_dual_add_f32 v79, v11, v7 :: v_dual_add_f32 v20, v10, v28
	v_sub_f32_e32 v10, v28, v10
	s_delay_alu instid0(VALU_DEP_4)
	v_dual_add_f32 v28, v32, v18 :: v_dual_mul_f32 v53, 0x3d64c772, v17
	v_dual_sub_f32 v81, v11, v7 :: v_dual_sub_f32 v18, v32, v18
	v_sub_f32_e32 v11, v3, v11
	v_dual_sub_f32 v7, v7, v3 :: v_dual_add_f32 v32, v22, v40
	v_dual_add_f32 v83, v33, v29 :: v_dual_sub_f32 v22, v22, v40
	v_sub_f32_e32 v85, v33, v29
	v_sub_f32_e32 v29, v29, v41
	;; [unrolled: 1-line block ×3, first 2 shown]
	s_delay_alu instid0(VALU_DEP_4) | instskip(SKIP_1) | instid1(VALU_DEP_4)
	v_add_f32_e32 v41, v41, v83
	v_dual_add_f32 v87, v31, v23 :: v_dual_add_f32 v40, v36, v30
	v_dual_sub_f32 v30, v30, v36 :: v_dual_mul_f32 v29, 0x3f4a47b2, v29
	v_dual_add_f32 v36, v34, v56 :: v_dual_sub_f32 v89, v31, v23
	v_dual_sub_f32 v56, v34, v56 :: v_dual_sub_f32 v23, v23, v19
	v_add_f32_e32 v34, v48, v42
	v_dual_sub_f32 v42, v48, v42 :: v_dual_add_f32 v91, v35, v37
	v_sub_f32_e32 v93, v35, v37
	v_add_f32_e32 v35, v79, v3
	v_add_f32_e32 v3, v25, v21
	v_sub_f32_e32 v31, v19, v31
	v_dual_sub_f32 v95, v37, v49 :: v_dual_sub_f32 v76, v16, v74
	v_dual_mul_f32 v37, 0x3f4a47b2, v75 :: v_dual_add_f32 v48, v38, v52
	v_dual_mul_f32 v75, 0xbf08b237, v81 :: v_dual_sub_f32 v38, v52, v38
	v_add_f32_e32 v52, v16, v74
	v_dual_sub_f32 v16, v20, v16 :: v_dual_fmamk_f32 v21, v21, 0xbf955555, v3
	v_mul_f32_e32 v79, 0x3f5ff5aa, v7
	v_add_f32_e32 v19, v87, v19
	v_mul_f32_e32 v81, 0x3d64c772, v33
	v_mul_f32_e32 v83, 0xbf08b237, v89
	;; [unrolled: 1-line block ×3, first 2 shown]
	v_fma_f32 v25, 0x3f3bfb3b, v77, -v53
	v_add_f32_e32 v86, v30, v22
	v_dual_sub_f32 v74, v74, v20 :: v_dual_fmamk_f32 v17, v17, 0x3d64c772, v37
	v_fma_f32 v37, 0xbf3bfb3b, v77, -v37
	v_dual_sub_f32 v88, v30, v22 :: v_dual_fmamk_f32 v53, v11, 0x3eae86e6, v75
	v_add_f32_e32 v78, v10, v6
	v_fma_f32 v75, 0x3f5ff5aa, v7, -v75
	v_sub_f32_e32 v80, v10, v6
	v_fma_f32 v77, 0xbeae86e6, v11, -v79
	v_dual_add_f32 v7, v27, v41 :: v_dual_sub_f32 v6, v6, v2
	v_dual_fmamk_f32 v11, v33, 0x3d64c772, v29 :: v_dual_sub_f32 v30, v18, v30
	v_fma_f32 v27, 0x3f3bfb3b, v85, -v81
	v_dual_sub_f32 v22, v22, v18 :: v_dual_fmamk_f32 v79, v31, 0x3eae86e6, v83
	v_add_f32_e32 v82, v32, v28
	v_fma_f32 v81, 0xbeae86e6, v31, -v87
	v_dual_add_f32 v25, v25, v21 :: v_dual_add_f32 v18, v86, v18
	v_dual_add_f32 v49, v49, v91 :: v_dual_sub_f32 v84, v32, v28
	s_delay_alu instid0(VALU_DEP_3)
	v_dual_sub_f32 v28, v28, v40 :: v_dual_fmac_f32 v81, 0x3ee1c552, v19
	v_dual_sub_f32 v10, v2, v10 :: v_dual_fmac_f32 v77, 0x3ee1c552, v35
	v_dual_sub_f32 v32, v40, v32 :: v_dual_add_f32 v31, v17, v21
	v_sub_f32_e32 v92, v34, v36
	v_sub_f32_e32 v94, v36, v48
	;; [unrolled: 1-line block ×3, first 2 shown]
	v_add_f32_e32 v20, v20, v52
	v_mul_f32_e32 v52, 0x3d64c772, v16
	v_mul_f32_e32 v28, 0x3f4a47b2, v28
	v_fma_f32 v29, 0xbf3bfb3b, v85, -v29
	v_add_f32_e32 v90, v34, v36
	v_mul_f32_e32 v36, 0x3f4a47b2, v74
	v_dual_fmac_f32 v53, 0x3ee1c552, v35 :: v_dual_add_f32 v34, v78, v2
	v_mul_f32_e32 v78, 0x3f5ff5aa, v6
	v_fmac_f32_e32 v75, 0x3ee1c552, v35
	v_mul_f32_e32 v74, 0xbf08b237, v80
	v_mul_f32_e32 v80, 0x3d64c772, v32
	v_add_f32_e32 v2, v24, v20
	v_fmamk_f32 v16, v16, 0x3d64c772, v36
	v_fma_f32 v24, 0x3f3bfb3b, v76, -v52
	v_fma_f32 v36, 0xbf3bfb3b, v76, -v36
	v_fmamk_f32 v52, v10, 0x3eae86e6, v74
	v_fma_f32 v76, 0xbeae86e6, v10, -v78
	v_fmamk_f32 v10, v32, 0x3d64c772, v28
	;; [unrolled: 2-line block ×3, first 2 shown]
	v_fmac_f32_e32 v79, 0x3ee1c552, v19
	v_add_f32_e32 v35, v37, v21
	v_fma_f32 v74, 0x3f5ff5aa, v6, -v74
	s_delay_alu instid0(VALU_DEP_4) | instskip(SKIP_2) | instid1(VALU_DEP_4)
	v_dual_fmac_f32 v52, 0x3ee1c552, v34 :: v_dual_add_f32 v37, v11, v23
	v_add_f32_e32 v40, v40, v82
	v_dual_mul_f32 v82, 0xbf08b237, v88 :: v_dual_add_f32 v41, v27, v23
	v_dual_fmac_f32 v74, 0x3ee1c552, v34 :: v_dual_add_f32 v83, v29, v23
	v_add_f32_e32 v48, v48, v90
	s_delay_alu instid0(VALU_DEP_3) | instskip(SKIP_1) | instid1(VALU_DEP_4)
	v_fma_f32 v33, 0x3f5ff5aa, v22, -v82
	v_dual_fmac_f32 v32, 0x3ee1c552, v19 :: v_dual_sub_f32 v11, v31, v52
	v_add_f32_e32 v19, v74, v25
	v_sub_f32_e32 v21, v25, v74
	s_delay_alu instid0(VALU_DEP_4) | instskip(SKIP_2) | instid1(VALU_DEP_3)
	v_fmac_f32_e32 v33, 0x3ee1c552, v18
	v_dual_add_f32 v25, v52, v31 :: v_dual_fmac_f32 v76, 0x3ee1c552, v34
	v_add_f32_e32 v98, v38, v42
	v_dual_sub_f32 v100, v38, v42 :: v_dual_add_f32 v31, v33, v41
	v_sub_f32_e32 v33, v41, v33
	v_sub_f32_e32 v41, v56, v38
	v_add_f32_e32 v38, v44, v48
	v_dual_sub_f32 v17, v35, v76 :: v_dual_mul_f32 v86, 0x3f5ff5aa, v22
	v_fma_f32 v28, 0xbf3bfb3b, v84, -v28
	v_sub_f32_e32 v52, v57, v39
	s_delay_alu instid0(VALU_DEP_4) | instskip(SKIP_4) | instid1(VALU_DEP_4)
	v_fmamk_f32 v48, v48, 0xbf955555, v38
	v_fmamk_f32 v78, v30, 0x3eae86e6, v82
	v_sub_f32_e32 v42, v42, v56
	v_mul_f32_e32 v74, 0x3d64c772, v97
	v_mul_f32_e32 v44, 0x3f4a47b2, v94
	v_fmac_f32_e32 v78, 0x3ee1c552, v18
	s_delay_alu instid0(VALU_DEP_3) | instskip(NEXT) | instid1(VALU_DEP_2)
	v_fma_f32 v74, 0x3f3bfb3b, v93, -v74
	v_sub_f32_e32 v27, v37, v78
	v_add_f32_e32 v37, v78, v37
	v_add_f32_e32 v6, v26, v40
	v_fma_f32 v26, 0x3f3bfb3b, v84, -v80
	v_fmamk_f32 v20, v20, 0xbf955555, v2
	v_fma_f32 v80, 0xbeae86e6, v30, -v86
	v_fmamk_f32 v78, v96, 0x3d64c772, v44
	v_fmamk_f32 v22, v40, 0xbf955555, v6
	s_delay_alu instid0(VALU_DEP_4) | instskip(SKIP_2) | instid1(VALU_DEP_4)
	v_add_f32_e32 v30, v16, v20
	v_add_f32_e32 v24, v24, v20
	v_fmac_f32_e32 v80, 0x3ee1c552, v18
	v_add_f32_e32 v40, v26, v22
	v_add_f32_e32 v34, v36, v20
	;; [unrolled: 1-line block ×4, first 2 shown]
	v_sub_f32_e32 v18, v24, v75
	v_add_f32_e32 v20, v75, v24
	v_sub_f32_e32 v24, v30, v53
	v_sub_f32_e32 v30, v40, v32
	v_add_f32_e32 v32, v32, v40
	v_sub_f32_e32 v40, v39, v43
	v_add_f32_e32 v82, v28, v22
	v_add_f32_e32 v16, v77, v34
	v_sub_f32_e32 v22, v34, v77
	v_add_f32_e32 v53, v98, v56
	v_mul_f32_e32 v40, 0xbf08b237, v40
	v_add_f32_e32 v28, v81, v82
	v_sub_f32_e32 v34, v82, v81
	v_add_f32_e32 v56, v99, v57
	v_add_f32_e32 v39, v45, v49
	v_fmamk_f32 v81, v52, 0x3eae86e6, v40
	v_sub_f32_e32 v29, v83, v80
	v_sub_f32_e32 v43, v43, v57
	v_mul_f32_e32 v45, 0x3f4a47b2, v95
	v_fmamk_f32 v49, v49, 0xbf955555, v39
	v_fmac_f32_e32 v81, 0x3ee1c552, v56
	v_add_f32_e32 v23, v76, v35
	v_mul_f32_e32 v75, 0xbf08b237, v100
	v_add_f32_e32 v35, v80, v83
	v_add_f32_e32 v26, v36, v79
	v_sub_f32_e32 v36, v36, v79
	v_mul_f32_e32 v77, 0x3f5ff5aa, v43
	v_fmamk_f32 v80, v41, 0x3eae86e6, v75
	v_fma_f32 v75, 0x3f5ff5aa, v42, -v75
	v_fmamk_f32 v79, v97, 0x3d64c772, v45
	v_fma_f32 v45, 0xbf3bfb3b, v93, -v45
	v_add_f32_e32 v74, v74, v49
	v_fma_f32 v52, 0xbeae86e6, v52, -v77
	v_fmac_f32_e32 v75, 0x3ee1c552, v53
	v_dual_add_f32 v77, v78, v48 :: v_dual_add_f32 v78, v79, v49
	v_add_f32_e32 v83, v45, v49
	v_fma_f32 v82, 0x3f5ff5aa, v43, -v40
	s_delay_alu instid0(VALU_DEP_4)
	v_add_f32_e32 v45, v75, v74
	v_sub_f32_e32 v49, v74, v75
	v_add_f32_e32 v75, v61, v59
	v_sub_f32_e32 v59, v61, v59
	v_add_f32_e32 v61, v51, v69
	v_sub_f32_e32 v51, v51, v69
	v_add_f32_e32 v69, v65, v55
	v_dual_sub_f32 v55, v55, v65 :: v_dual_mul_f32 v76, 0x3f5ff5aa, v42
	s_delay_alu instid0(VALU_DEP_4) | instskip(SKIP_2) | instid1(VALU_DEP_4)
	v_dual_add_f32 v65, v61, v75 :: v_dual_fmac_f32 v82, 0x3ee1c552, v56
	v_add_f32_e32 v40, v77, v81
	v_fmac_f32_e32 v80, 0x3ee1c552, v53
	v_fma_f32 v76, 0xbeae86e6, v41, -v76
	s_delay_alu instid0(VALU_DEP_4) | instskip(SKIP_2) | instid1(VALU_DEP_4)
	v_add_f32_e32 v65, v69, v65
	v_dual_mul_f32 v57, 0x3d64c772, v96 :: v_dual_add_f32 v74, v60, v58
	v_sub_f32_e32 v58, v60, v58
	v_fmac_f32_e32 v76, 0x3ee1c552, v53
	s_delay_alu instid0(VALU_DEP_4) | instskip(NEXT) | instid1(VALU_DEP_4)
	v_add_f32_e32 v47, v47, v65
	v_fma_f32 v57, 0x3f3bfb3b, v92, -v57
	v_add_f32_e32 v60, v50, v68
	v_sub_f32_e32 v50, v50, v68
	v_sub_f32_e32 v43, v83, v76
	v_fmamk_f32 v65, v65, 0xbf955555, v47
	v_fmac_f32_e32 v52, 0x3ee1c552, v56
	v_sub_f32_e32 v56, v77, v81
	v_sub_f32_e32 v77, v61, v75
	;; [unrolled: 1-line block ×4, first 2 shown]
	v_add_f32_e32 v53, v76, v83
	v_sub_f32_e32 v81, v55, v51
	v_add_f32_e32 v57, v57, v48
	v_mul_f32_e32 v69, 0x3f4a47b2, v75
	v_dual_mul_f32 v75, 0x3d64c772, v61 :: v_dual_add_f32 v68, v64, v54
	s_delay_alu instid0(VALU_DEP_2) | instskip(NEXT) | instid1(VALU_DEP_2)
	v_fmamk_f32 v61, v61, 0x3d64c772, v69
	v_fma_f32 v75, 0x3f3bfb3b, v77, -v75
	v_fma_f32 v69, 0xbf3bfb3b, v77, -v69
	s_delay_alu instid0(VALU_DEP_3) | instskip(SKIP_1) | instid1(VALU_DEP_4)
	v_add_f32_e32 v83, v61, v65
	v_fma_f32 v44, 0xbf3bfb3b, v92, -v44
	v_add_f32_e32 v61, v75, v65
	s_delay_alu instid0(VALU_DEP_4)
	v_add_f32_e32 v65, v69, v65
	v_add_f32_e32 v75, v63, v73
	v_sub_f32_e32 v63, v63, v73
	v_add_f32_e32 v79, v44, v48
	v_dual_add_f32 v73, v9, v71 :: v_dual_sub_f32 v54, v54, v64
	v_dual_sub_f32 v9, v9, v71 :: v_dual_add_f32 v64, v60, v74
	s_delay_alu instid0(VALU_DEP_3)
	v_add_f32_e32 v42, v52, v79
	v_sub_f32_e32 v52, v79, v52
	v_add_f32_e32 v79, v55, v51
	v_sub_f32_e32 v51, v51, v59
	v_sub_f32_e32 v55, v59, v55
	v_add_f32_e32 v71, v67, v5
	v_sub_f32_e32 v5, v5, v67
	v_add_f32_e32 v59, v79, v59
	v_mul_f32_e32 v79, 0xbf08b237, v81
	v_mul_f32_e32 v81, 0x3f5ff5aa, v51
	v_add_f32_e32 v67, v73, v75
	v_sub_f32_e32 v44, v57, v82
	s_delay_alu instid0(VALU_DEP_4) | instskip(NEXT) | instid1(VALU_DEP_4)
	v_dual_add_f32 v48, v82, v57 :: v_dual_fmamk_f32 v77, v55, 0x3eae86e6, v79
	v_fma_f32 v81, 0xbeae86e6, v55, -v81
	s_delay_alu instid0(VALU_DEP_4) | instskip(NEXT) | instid1(VALU_DEP_3)
	v_dual_add_f32 v67, v71, v67 :: v_dual_add_f32 v64, v68, v64
	v_dual_sub_f32 v76, v60, v74 :: v_dual_fmac_f32 v77, 0x3ee1c552, v59
	s_delay_alu instid0(VALU_DEP_3)
	v_fmac_f32_e32 v81, 0x3ee1c552, v59
	v_sub_f32_e32 v41, v78, v80
	v_add_f32_e32 v57, v80, v78
	v_sub_f32_e32 v80, v54, v50
	v_dual_sub_f32 v74, v74, v68 :: v_dual_add_f32 v1, v1, v67
	v_add_f32_e32 v46, v46, v64
	v_sub_f32_e32 v60, v68, v60
	v_add_f32_e32 v78, v54, v50
	s_delay_alu instid0(VALU_DEP_4)
	v_dual_sub_f32 v54, v58, v54 :: v_dual_fmamk_f32 v67, v67, 0xbf955555, v1
	v_mul_f32_e32 v68, 0x3f4a47b2, v74
	v_fmamk_f32 v64, v64, 0xbf955555, v46
	v_mul_f32_e32 v74, 0x3d64c772, v60
	v_sub_f32_e32 v50, v50, v58
	v_add_f32_e32 v58, v78, v58
	v_fmamk_f32 v60, v60, 0x3d64c772, v68
	v_mul_f32_e32 v78, 0xbf08b237, v80
	v_fma_f32 v74, 0x3f3bfb3b, v76, -v74
	v_fma_f32 v68, 0xbf3bfb3b, v76, -v68
	v_mul_f32_e32 v80, 0x3f5ff5aa, v50
	v_add_f32_e32 v82, v60, v64
	v_fmamk_f32 v76, v54, 0x3eae86e6, v78
	v_fma_f32 v78, 0x3f5ff5aa, v50, -v78
	v_add_f32_e32 v60, v74, v64
	v_add_f32_e32 v64, v68, v64
	;; [unrolled: 1-line block ×3, first 2 shown]
	v_dual_sub_f32 v68, v82, v77 :: v_dual_sub_f32 v77, v73, v75
	v_sub_f32_e32 v75, v75, v71
	v_sub_f32_e32 v73, v71, v73
	v_fma_f32 v80, 0xbeae86e6, v54, -v80
	v_fma_f32 v79, 0x3f5ff5aa, v51, -v79
	v_mul_lo_u16 v82, v12, 7
	v_mul_f32_e32 v71, 0x3f4a47b2, v75
	v_mul_f32_e32 v75, 0x3d64c772, v73
	s_delay_alu instid0(VALU_DEP_4) | instskip(NEXT) | instid1(VALU_DEP_3)
	v_dual_fmac_f32 v76, 0x3ee1c552, v58 :: v_dual_fmac_f32 v79, 0x3ee1c552, v59
	v_fmamk_f32 v73, v73, 0x3d64c772, v71
	s_delay_alu instid0(VALU_DEP_3) | instskip(SKIP_1) | instid1(VALU_DEP_3)
	v_fma_f32 v75, 0x3f3bfb3b, v77, -v75
	v_fma_f32 v71, 0xbf3bfb3b, v77, -v71
	v_dual_add_f32 v73, v73, v67 :: v_dual_fmac_f32 v78, 0x3ee1c552, v58
	v_add_f32_e32 v74, v62, v72
	v_sub_f32_e32 v62, v62, v72
	v_add_f32_e32 v72, v8, v70
	v_sub_f32_e32 v8, v8, v70
	v_add_f32_e32 v70, v66, v4
	v_dual_sub_f32 v4, v4, v66 :: v_dual_add_f32 v75, v75, v67
	v_dual_fmac_f32 v80, 0x3ee1c552, v58 :: v_dual_add_f32 v59, v78, v61
	s_delay_alu instid0(VALU_DEP_2) | instskip(SKIP_1) | instid1(VALU_DEP_3)
	v_dual_sub_f32 v61, v61, v78 :: v_dual_add_f32 v78, v4, v8
	v_add_f32_e32 v54, v81, v64
	v_sub_f32_e32 v55, v65, v80
	v_add_f32_e32 v65, v80, v65
	v_sub_f32_e32 v80, v4, v8
	v_sub_f32_e32 v8, v8, v62
	;; [unrolled: 1-line block ×3, first 2 shown]
	v_add_f32_e32 v62, v78, v62
	v_sub_f32_e32 v58, v60, v79
	v_mul_f32_e32 v78, 0xbf08b237, v80
	v_mul_f32_e32 v80, 0x3f5ff5aa, v8
	v_sub_f32_e32 v64, v64, v81
	v_sub_f32_e32 v81, v5, v9
	v_dual_add_f32 v71, v71, v67 :: v_dual_add_f32 v66, v72, v74
	s_delay_alu instid0(VALU_DEP_4) | instskip(NEXT) | instid1(VALU_DEP_2)
	v_fma_f32 v80, 0xbeae86e6, v4, -v80
	v_add_f32_e32 v66, v70, v66
	s_delay_alu instid0(VALU_DEP_2) | instskip(SKIP_2) | instid1(VALU_DEP_4)
	v_fmac_f32_e32 v80, 0x3ee1c552, v62
	v_dual_add_f32 v60, v79, v60 :: v_dual_add_f32 v79, v5, v9
	v_sub_f32_e32 v5, v63, v5
	v_dual_sub_f32 v9, v9, v63 :: v_dual_add_f32 v0, v0, v66
	s_delay_alu instid0(VALU_DEP_3) | instskip(SKIP_1) | instid1(VALU_DEP_3)
	v_add_f32_e32 v63, v79, v63
	v_mul_f32_e32 v79, 0xbf08b237, v81
	v_mul_f32_e32 v81, 0x3f5ff5aa, v9
	s_delay_alu instid0(VALU_DEP_4) | instskip(NEXT) | instid1(VALU_DEP_3)
	v_fmamk_f32 v66, v66, 0xbf955555, v0
	v_fmamk_f32 v77, v5, 0x3eae86e6, v79
	v_fma_f32 v79, 0x3f5ff5aa, v9, -v79
	s_delay_alu instid0(VALU_DEP_4)
	v_fma_f32 v81, 0xbeae86e6, v5, -v81
	v_sub_f32_e32 v9, v71, v80
	v_add_f32_e32 v71, v80, v71
	v_fmac_f32_e32 v77, 0x3ee1c552, v63
	v_fmac_f32_e32 v79, 0x3ee1c552, v63
	v_sub_f32_e32 v51, v83, v76
	v_add_f32_e32 v69, v76, v83
	v_sub_f32_e32 v76, v72, v74
	v_sub_f32_e32 v74, v74, v70
	v_dual_sub_f32 v72, v70, v72 :: v_dual_fmac_f32 v81, 0x3ee1c552, v63
	s_delay_alu instid0(VALU_DEP_2) | instskip(NEXT) | instid1(VALU_DEP_2)
	v_mul_f32_e32 v70, 0x3f4a47b2, v74
	v_mul_f32_e32 v74, 0x3d64c772, v72
	s_delay_alu instid0(VALU_DEP_2) | instskip(NEXT) | instid1(VALU_DEP_2)
	v_fmamk_f32 v72, v72, 0x3d64c772, v70
	v_fma_f32 v74, 0x3f3bfb3b, v76, -v74
	v_fma_f32 v70, 0xbf3bfb3b, v76, -v70
	v_fmamk_f32 v76, v4, 0x3eae86e6, v78
	v_fma_f32 v78, 0x3f5ff5aa, v8, -v78
	v_add_f32_e32 v72, v72, v66
	v_add_f32_e32 v74, v74, v66
	;; [unrolled: 1-line block ×3, first 2 shown]
	v_fmac_f32_e32 v76, 0x3ee1c552, v62
	v_fmac_f32_e32 v78, 0x3ee1c552, v62
	v_add_f32_e32 v4, v72, v77
	v_sub_f32_e32 v62, v74, v79
	v_add_f32_e32 v66, v79, v74
	v_dual_sub_f32 v5, v73, v76 :: v_dual_and_b32 v74, 0xffff, v82
	v_sub_f32_e32 v128, v72, v77
	v_add_f32_e32 v129, v76, v73
	v_mul_u32_u24_e32 v72, 7, v208
	s_delay_alu instid0(VALU_DEP_4)
	v_lshl_add_u32 v73, v74, 3, v196
	ds_store_2addr_b64 v73, v[2:3], v[10:11] offset1:1
	ds_store_2addr_b64 v73, v[16:17], v[18:19] offset0:2 offset1:3
	v_lshl_add_u32 v10, v72, 3, v196
	v_mul_u32_u24_e32 v2, 7, v197
	v_mul_u32_u24_e32 v3, 7, v102
	ds_store_2addr_b64 v73, v[20:21], v[22:23] offset0:4 offset1:5
	ds_store_b64 v73, v[24:25] offset:48
	s_clause 0x1
	scratch_store_b32 off, v73, off offset:316
	scratch_store_b32 off, v102, off offset:328
	ds_store_2addr_b64 v10, v[6:7], v[26:27] offset1:1
	ds_store_2addr_b64 v10, v[28:29], v[30:31] offset0:2 offset1:3
	v_lshl_add_u32 v6, v2, 3, v196
	v_mul_u32_u24_e32 v2, 7, v101
	v_lshl_add_u32 v3, v3, 3, v196
	v_dual_add_f32 v8, v81, v70 :: v_dual_add_f32 v63, v78, v75
	v_sub_f32_e32 v67, v75, v78
	s_delay_alu instid0(VALU_DEP_4)
	v_lshl_add_u32 v2, v2, 3, v196
	v_sub_f32_e32 v70, v70, v81
	ds_store_2addr_b64 v10, v[32:33], v[34:35] offset0:4 offset1:5
	ds_store_b64 v10, v[36:37] offset:48
	s_clause 0x1
	scratch_store_b32 off, v10, off offset:312
	scratch_store_b32 off, v101, off offset:324
	ds_store_2addr_b64 v6, v[38:39], v[40:41] offset1:1
	ds_store_2addr_b64 v6, v[42:43], v[44:45] offset0:2 offset1:3
	ds_store_2addr_b64 v6, v[48:49], v[52:53] offset0:4 offset1:5
	scratch_store_b32 off, v6, off offset:308 ; 4-byte Folded Spill
	ds_store_b64 v6, v[56:57] offset:48
	ds_store_2addr_b64 v3, v[46:47], v[50:51] offset1:1
	ds_store_2addr_b64 v3, v[54:55], v[58:59] offset0:2 offset1:3
	ds_store_2addr_b64 v3, v[60:61], v[64:65] offset0:4 offset1:5
	scratch_store_b32 off, v3, off offset:304 ; 4-byte Folded Spill
	ds_store_b64 v3, v[68:69] offset:48
	ds_store_2addr_b64 v2, v[0:1], v[4:5] offset1:1
	ds_store_2addr_b64 v2, v[8:9], v[62:63] offset0:2 offset1:3
	ds_store_2addr_b64 v2, v[66:67], v[70:71] offset0:4 offset1:5
	v_add_nc_u32_e32 v0, 0x400, v255
	scratch_store_b32 off, v2, off offset:300 ; 4-byte Folded Spill
	ds_store_b64 v2, v[128:129] offset:48
	global_wb scope:SCOPE_SE
	s_wait_storecnt_dscnt 0x0
	s_barrier_signal -1
	s_barrier_wait -1
	global_inv scope:SCOPE_SE
	ds_load_2addr_b64 v[32:35], v255 offset1:17
	ds_load_2addr_b64 v[192:195], v255 offset0:35 offset1:52
	ds_load_2addr_b64 v[188:191], v255 offset0:70 offset1:87
	;; [unrolled: 1-line block ×16, first 2 shown]
	v_add_co_u32 v0, s10, s4, v13
	s_delay_alu instid0(VALU_DEP_1)
	v_add_co_ci_u32_e64 v1, null, s5, 0, s10
                                        ; implicit-def: $vgpr50
                                        ; implicit-def: $vgpr44
                                        ; implicit-def: $vgpr40
                                        ; implicit-def: $vgpr36
                                        ; implicit-def: $vgpr58
                                        ; implicit-def: $vgpr54
	scratch_store_b64 off, v[0:1], off offset:332 ; 8-byte Folded Spill
	s_and_saveexec_b32 s10, vcc_lo
	s_cbranch_execz .LBB0_3
; %bb.2:
	v_add_nc_u32_e32 v0, 0x400, v196
	v_add_nc_u32_e32 v1, 0x800, v196
	;; [unrolled: 1-line block ×3, first 2 shown]
	ds_load_2addr_b64 v[128:131], v196 offset0:34 offset1:69
	ds_load_2addr_b64 v[124:127], v196 offset0:104 offset1:139
	;; [unrolled: 1-line block ×8, first 2 shown]
	ds_load_b64 v[198:199], v196 offset:4752
.LBB0_3:
	s_wait_alu 0xfffe
	s_or_b32 exec_lo, exec_lo, s10
	scratch_load_b32 v3, off, off           ; 4-byte Folded Reload
	s_wait_loadcnt 0x0
	v_and_b32_e32 v0, 0xff, v3
	s_delay_alu instid0(VALU_DEP_1) | instskip(NEXT) | instid1(VALU_DEP_1)
	v_mul_lo_u16 v0, v0, 37
	v_lshrrev_b16 v0, 8, v0
	s_delay_alu instid0(VALU_DEP_1) | instskip(NEXT) | instid1(VALU_DEP_1)
	v_sub_nc_u16 v1, v3, v0
	v_lshrrev_b16 v1, 1, v1
	s_delay_alu instid0(VALU_DEP_1) | instskip(NEXT) | instid1(VALU_DEP_1)
	v_and_b32_e32 v1, 0x7f, v1
	v_add_nc_u16 v0, v1, v0
	v_and_b32_e32 v1, 0xff, v208
	s_delay_alu instid0(VALU_DEP_2) | instskip(NEXT) | instid1(VALU_DEP_2)
	v_lshrrev_b16 v2, 2, v0
	v_mul_lo_u16 v0, v1, 37
	s_delay_alu instid0(VALU_DEP_2) | instskip(SKIP_3) | instid1(VALU_DEP_2)
	v_mul_lo_u16 v1, v2, 7
	scratch_store_b32 off, v2, off offset:340 ; 4-byte Folded Spill
	v_lshrrev_b16 v2, 8, v0
	v_sub_nc_u16 v0, v3, v1
	v_sub_nc_u16 v1, v208, v2
	s_delay_alu instid0(VALU_DEP_2) | instskip(NEXT) | instid1(VALU_DEP_2)
	v_and_b32_e32 v0, 0xff, v0
	v_lshrrev_b16 v1, 1, v1
	s_delay_alu instid0(VALU_DEP_2) | instskip(NEXT) | instid1(VALU_DEP_2)
	v_lshlrev_b32_e32 v3, 7, v0
	v_and_b32_e32 v1, 0x7f, v1
	s_clause 0x1
	global_load_b128 v[120:123], v3, s[6:7]
	global_load_b128 v[116:119], v3, s[6:7] offset:16
	v_add_nc_u16 v1, v1, v2
	s_delay_alu instid0(VALU_DEP_1) | instskip(SKIP_2) | instid1(VALU_DEP_1)
	v_lshrrev_b16 v1, 2, v1
	scratch_store_b32 off, v1, off offset:344 ; 4-byte Folded Spill
	v_mul_lo_u16 v1, v1, 7
	v_sub_nc_u16 v1, v208, v1
	s_wait_loadcnt_dscnt 0x10f
	v_mul_f32_e32 v238, v192, v121
	s_clause 0x3
	global_load_b128 v[112:115], v3, s[6:7] offset:32
	global_load_b128 v[100:103], v3, s[6:7] offset:48
	;; [unrolled: 1-line block ×4, first 2 shown]
	v_and_b32_e32 v1, 0xff, v1
	global_load_b128 v[96:99], v3, s[6:7] offset:96
	s_wait_loadcnt_dscnt 0x50d
	v_mul_f32_e32 v4, v185, v117
	s_wait_dscnt 0xc
	v_mul_f32_e32 v6, v181, v119
	v_mul_f32_e32 v237, v188, v123
	v_dual_mul_f32 v223, v180, v119 :: v_dual_fmac_f32 v238, v193, v120
	s_delay_alu instid0(VALU_DEP_2) | instskip(SKIP_1) | instid1(VALU_DEP_2)
	v_fmac_f32_e32 v237, v189, v122
	s_wait_loadcnt_dscnt 0x40a
	v_dual_fmac_f32 v223, v181, v118 :: v_dual_mul_f32 v252, v172, v115
	v_lshlrev_b32_e32 v2, 7, v1
	s_clause 0x6
	global_load_b128 v[92:95], v3, s[6:7] offset:112
	global_load_b128 v[88:91], v2, s[6:7]
	global_load_b128 v[84:87], v2, s[6:7] offset:16
	global_load_b128 v[80:83], v2, s[6:7] offset:32
	;; [unrolled: 1-line block ×5, first 2 shown]
	s_wait_loadcnt_dscnt 0xa08
	v_dual_mul_f32 v10, v165, v103 :: v_dual_and_b32 v3, 0xff, v197
	s_clause 0x1
	global_load_b128 v[64:67], v2, s[6:7] offset:96
	global_load_b128 v[60:63], v2, s[6:7] offset:112
	v_mul_f32_e32 v9, v169, v101
	v_mul_lo_u16 v3, v3, 37
	s_wait_loadcnt_dscnt 0xb07
	v_mul_f32_e32 v11, v161, v109
	s_wait_loadcnt_dscnt 0x902
	v_mul_f32_e32 v227, v140, v99
	v_mul_f32_e32 v228, v184, v117
	;; [unrolled: 1-line block ×3, first 2 shown]
	v_lshrrev_b16 v3, 8, v3
	v_mul_f32_e32 v254, v176, v113
	v_mul_f32_e32 v8, v173, v115
	;; [unrolled: 1-line block ×3, first 2 shown]
	v_dual_mul_f32 v248, v164, v103 :: v_dual_mul_f32 v13, v153, v105
	v_sub_nc_u16 v2, v197, v3
	v_dual_mul_f32 v249, v160, v109 :: v_dual_mul_f32 v12, v157, v111
	v_dual_mul_f32 v253, v152, v105 :: v_dual_mul_f32 v14, v149, v107
	s_delay_alu instid0(VALU_DEP_3)
	v_lshrrev_b16 v2, 1, v2
	v_mul_f32_e32 v200, v141, v99
	v_fma_f32 v164, v164, v102, -v10
	v_mul_f32_e32 v251, v156, v111
	v_dual_mul_f32 v222, v148, v107 :: v_dual_mul_f32 v15, v145, v97
	v_and_b32_e32 v2, 0x7f, v2
	v_fma_f32 v4, v184, v116, -v4
	v_fma_f32 v152, v152, v104, -v13
	;; [unrolled: 1-line block ×4, first 2 shown]
	v_add_nc_u16 v2, v2, v3
	v_mul_f32_e32 v3, v189, v123
	v_fma_f32 v156, v156, v110, -v12
	v_fmac_f32_e32 v249, v161, v108
	v_fmac_f32_e32 v251, v157, v110
	v_lshrrev_b16 v2, 2, v2
	s_delay_alu instid0(VALU_DEP_1) | instskip(NEXT) | instid1(VALU_DEP_1)
	v_mul_lo_u16 v2, v2, 7
	v_sub_nc_u16 v2, v197, v2
	s_clause 0x1
	scratch_store_b32 off, v197, off offset:296
	scratch_store_b32 off, v2, off offset:320
	v_lshlrev_b16 v2, 4, v2
	s_delay_alu instid0(VALU_DEP_1) | instskip(NEXT) | instid1(VALU_DEP_1)
	v_and_b32_e32 v2, 0xf0, v2
	v_lshlrev_b32_e32 v2, 3, v2
	s_clause 0x7
	global_load_b128 v[28:31], v2, s[6:7]
	global_load_b128 v[204:207], v2, s[6:7] offset:16
	global_load_b128 v[229:232], v2, s[6:7] offset:32
	;; [unrolled: 1-line block ×7, first 2 shown]
	v_mul_f32_e32 v2, v193, v121
	s_delay_alu instid0(VALU_DEP_1)
	v_fma_f32 v5, v192, v120, -v2
	s_wait_loadcnt_dscnt 0x1001
	v_mul_f32_e32 v226, v136, v93
	s_wait_loadcnt 0xf
	v_dual_mul_f32 v201, v137, v93 :: v_dual_mul_f32 v246, v190, v91
	s_wait_loadcnt 0xe
	v_mul_f32_e32 v210, v187, v85
	s_wait_loadcnt 0xc
	v_dual_mul_f32 v243, v178, v81 :: v_dual_mul_f32 v2, v167, v79
	s_wait_dscnt 0x0
	v_dual_mul_f32 v202, v133, v95 :: v_dual_mul_f32 v247, v194, v89
	v_mul_f32_e32 v224, v144, v97
	v_dual_mul_f32 v225, v132, v95 :: v_dual_mul_f32 v212, v179, v81
	v_mul_f32_e32 v203, v195, v89
	v_mul_f32_e32 v209, v191, v91
	v_mul_f32_e32 v245, v186, v85
	v_mul_f32_e32 v211, v183, v87
	v_mul_f32_e32 v244, v182, v87
	v_mul_f32_e32 v213, v175, v83
	v_mul_f32_e32 v242, v174, v83
	v_dual_mul_f32 v193, v170, v77 :: v_dual_fmac_f32 v246, v191, v90
	v_fma_f32 v186, v186, v84, -v210
	s_wait_loadcnt 0x9
	v_dual_mul_f32 v210, v151, v71 :: v_dual_mul_f32 v181, v146, v65
	s_wait_loadcnt 0x8
	v_mul_f32_e32 v216, v139, v61
	v_fmac_f32_e32 v243, v179, v80
	v_fma_f32 v179, v168, v100, -v9
	v_fmac_f32_e32 v226, v137, v92
	v_dual_mul_f32 v214, v171, v77 :: v_dual_mul_f32 v189, v158, v75
	v_fma_f32 v194, v194, v88, -v203
	v_dual_fmac_f32 v247, v195, v88 :: v_dual_mul_f32 v192, v166, v79
	v_fmac_f32_e32 v245, v187, v84
	v_mul_f32_e32 v203, v163, v73
	v_fma_f32 v190, v190, v90, -v209
	v_dual_mul_f32 v209, v155, v69 :: v_dual_fmac_f32 v228, v185, v116
	v_mul_f32_e32 v185, v150, v71
	v_mul_f32_e32 v184, v154, v69
	;; [unrolled: 1-line block ×3, first 2 shown]
	v_fma_f32 v191, v180, v118, -v6
	v_fma_f32 v180, v182, v86, -v211
	v_mul_f32_e32 v182, v142, v67
	v_fmac_f32_e32 v244, v183, v86
	v_dual_mul_f32 v211, v143, v67 :: v_dual_fmac_f32 v254, v177, v112
	v_fma_f32 v187, v176, v112, -v7
	v_fma_f32 v176, v178, v80, -v212
	v_mul_f32_e32 v212, v135, v63
	v_mul_f32_e32 v178, v134, v63
	v_fma_f32 v183, v172, v114, -v8
	v_dual_fmac_f32 v252, v173, v114 :: v_dual_fmac_f32 v193, v171, v76
	v_dual_fmac_f32 v253, v153, v104 :: v_dual_fmac_f32 v242, v175, v82
	;; [unrolled: 1-line block ×3, first 2 shown]
	v_fma_f32 v145, v140, v98, -v200
	v_fma_f32 v6, v132, v94, -v202
	v_dual_fmac_f32 v225, v133, v94 :: v_dual_fmac_f32 v184, v155, v68
	v_fma_f32 v172, v174, v82, -v213
	v_fma_f32 v140, v166, v78, -v2
	;; [unrolled: 1-line block ×5, first 2 shown]
	v_dual_mul_f32 v188, v162, v73 :: v_dual_mul_f32 v3, v159, v75
	s_wait_loadcnt 0x6
	v_dual_mul_f32 v8, v125, v31 :: v_dual_mul_f32 v9, v127, v205
	s_wait_loadcnt 0x5
	;; [unrolled: 2-line block ×3, first 2 shown]
	v_dual_mul_f32 v13, v59, v21 :: v_dual_mul_f32 v210, v124, v31
	v_dual_mul_f32 v213, v54, v230 :: v_dual_mul_f32 v14, v49, v23
	s_wait_loadcnt 0x2
	v_dual_mul_f32 v239, v46, v25 :: v_dual_mul_f32 v216, v48, v23
	s_wait_loadcnt 0x0
	s_delay_alu instid0(VALU_DEP_2)
	v_dual_mul_f32 v2, v198, v220 :: v_dual_fmac_f32 v213, v55, v229
	v_fma_f32 v9, v126, v204, -v9
	v_fma_f32 v10, v52, v206, -v10
	v_mul_f32_e32 v177, v138, v61
	v_fma_f32 v144, v144, v96, -v15
	v_fma_f32 v7, v136, v92, -v201
	v_fma_f32 v168, v170, v76, -v214
	v_fmac_f32_e32 v192, v167, v78
	v_fma_f32 v170, v154, v68, -v209
	v_fma_f32 v173, v146, v64, -v215
	;; [unrolled: 1-line block ×3, first 2 shown]
	v_dual_mul_f32 v211, v126, v205 :: v_dual_fmac_f32 v182, v143, v66
	v_mul_f32_e32 v215, v58, v21
	v_fma_f32 v166, v134, v62, -v212
	v_dual_fmac_f32 v178, v135, v62 :: v_dual_mul_f32 v241, v50, v17
	v_dual_mul_f32 v212, v52, v207 :: v_dual_mul_f32 v15, v51, v17
	v_dual_mul_f32 v12, v57, v232 :: v_dual_mul_f32 v197, v44, v19
	;; [unrolled: 1-line block ×7, first 2 shown]
	v_mul_f32_e32 v138, v199, v220
	v_fma_f32 v8, v124, v30, -v8
	s_clause 0x1
	scratch_store_b128 off, v[204:207], off offset:428
	scratch_store_b128 off, v[233:236], off offset:412
	v_fma_f32 v207, v48, v22, -v14
	s_clause 0x1
	scratch_store_b128 off, v[20:23], off offset:364
	scratch_store_b128 off, v[16:19], off offset:348
	v_mov_b32_e32 v21, v9
	v_dual_fmac_f32 v216, v49, v22 :: v_dual_fmac_f32 v239, v47, v24
	v_dual_mov_b32 v22, v10 :: v_dual_fmac_f32 v221, v43, v233
	v_dual_fmac_f32 v2, v199, v219 :: v_dual_sub_f32 v9, v238, v225
	v_sub_f32_e32 v10, v5, v6
	v_dual_fmac_f32 v250, v169, v100 :: v_dual_fmac_f32 v189, v159, v74
	v_fma_f32 v169, v158, v74, -v3
	v_mul_f32_e32 v3, v38, v218
	v_dual_fmac_f32 v210, v125, v30 :: v_dual_fmac_f32 v211, v127, v204
	v_dual_fmac_f32 v212, v53, v206 :: v_dual_fmac_f32 v215, v59, v20
	v_fma_f32 v204, v54, v229, -v11
	v_fma_f32 v205, v56, v231, -v12
	s_clause 0x1
	scratch_store_b128 off, v[229:232], off offset:396
	scratch_store_b128 off, v[24:27], off offset:380
	v_dual_fmac_f32 v214, v57, v231 :: v_dual_fmac_f32 v241, v51, v16
	v_fma_f32 v206, v58, v20, -v13
	v_dual_mov_b32 v20, v8 :: v_dual_fmac_f32 v197, v45, v18
	v_fma_f32 v23, v50, v16, -v15
	v_fma_f32 v231, v44, v18, -v132
	;; [unrolled: 1-line block ×6, first 2 shown]
	v_dual_fmac_f32 v209, v37, v235 :: v_dual_mul_f32 v14, 0xbeb8f4ab, v9
	v_fma_f32 v232, v38, v217, -v137
	v_dual_add_f32 v8, v5, v6 :: v_dual_add_f32 v11, v238, v225
	v_dual_add_f32 v12, v195, v7 :: v_dual_sub_f32 v13, v237, v226
	v_mul_f32_e32 v36, 0xbf2c7751, v9
	v_mul_f32_e32 v38, 0xbf65296c, v9
	;; [unrolled: 1-line block ×8, first 2 shown]
	v_dual_mul_f32 v15, 0xbeb8f4ab, v10 :: v_dual_sub_f32 v150, v195, v7
	v_dual_fmac_f32 v240, v41, v26 :: v_dual_fmac_f32 v3, v39, v217
	v_mul_f32_e32 v37, 0xbf2c7751, v10
	v_mul_f32_e32 v39, 0xbf65296c, v10
	v_dual_mul_f32 v50, 0xbf4c4adb, v13 :: v_dual_add_f32 v151, v237, v226
	v_dual_fmamk_f32 v56, v11, 0x3f6eb680, v15 :: v_dual_add_f32 v5, v32, v5
	v_fma_f32 v15, 0x3f6eb680, v11, -v15
	v_fma_f32 v57, 0x3f3d2fb0, v8, -v36
	v_mul_f32_e32 v153, 0xbf2c7751, v150
	v_mul_f32_e32 v154, 0xbf7ee86f, v150
	v_dual_fmac_f32 v227, v141, v98 :: v_dual_fmac_f32 v188, v163, v72
	v_fma_f32 v141, v162, v72, -v203
	v_mul_f32_e32 v41, 0xbf7ee86f, v10
	v_mul_f32_e32 v43, 0xbf763a35, v10
	;; [unrolled: 1-line block ×3, first 2 shown]
	v_dual_mul_f32 v10, 0xbe3c28d5, v10 :: v_dual_mul_f32 v51, 0xbe3c28d5, v13
	v_dual_mul_f32 v48, 0xbf2c7751, v13 :: v_dual_add_f32 v5, v5, v195
	v_fma_f32 v55, 0x3f6eb680, v8, -v14
	v_fmamk_f32 v58, v11, 0x3f3d2fb0, v37
	v_dual_fmac_f32 v36, 0x3f3d2fb0, v8 :: v_dual_add_f32 v15, v33, v15
	v_fma_f32 v37, 0x3f3d2fb0, v11, -v37
	v_dual_fmamk_f32 v162, v151, 0x3f3d2fb0, v153 :: v_dual_add_f32 v5, v5, v4
	v_fma_f32 v153, 0x3f3d2fb0, v151, -v153
	v_fmamk_f32 v124, v11, 0x3ee437d1, v39
	v_fma_f32 v39, 0x3ee437d1, v11, -v39
	v_fmamk_f32 v163, v151, 0x3dbcf732, v154
	v_mul_f32_e32 v155, 0xbf4c4adb, v150
	v_dual_fmac_f32 v248, v165, v102 :: v_dual_fmac_f32 v181, v147, v64
	v_dual_fmac_f32 v222, v149, v106 :: v_dual_fmac_f32 v177, v139, v60
	v_fma_f32 v230, v198, v219, -v138
	v_dual_mul_f32 v52, 0x3f06c442, v13 :: v_dual_add_f32 v55, v32, v55
	v_dual_mul_f32 v54, 0x3f65296c, v13 :: v_dual_mul_f32 v161, 0x3f65296c, v150
	v_fmac_f32_e32 v14, 0x3f6eb680, v8
	v_fma_f32 v59, 0x3ee437d1, v8, -v38
	v_fmac_f32_e32 v38, 0x3ee437d1, v8
	v_fma_f32 v125, 0x3dbcf732, v8, -v40
	v_fmamk_f32 v199, v151, 0x3ee437d1, v161
	v_dual_fmamk_f32 v126, v11, 0x3dbcf732, v41 :: v_dual_add_f32 v37, v33, v37
	v_fma_f32 v127, 0xbe8c1d8e, v8, -v42
	v_fma_f32 v133, 0xbf1a4643, v8, -v44
	v_dual_fmamk_f32 v134, v11, 0xbf1a4643, v45 :: v_dual_add_f32 v39, v33, v39
	v_dual_fmac_f32 v44, 0xbf1a4643, v8 :: v_dual_fmamk_f32 v165, v151, 0xbf1a4643, v155
	v_fma_f32 v135, 0xbf59a7d5, v8, -v46
	v_fma_f32 v137, 0xbf7ba420, v8, -v9
	v_dual_fmamk_f32 v138, v11, 0xbf7ba420, v10 :: v_dual_fmac_f32 v9, 0xbf7ba420, v8
	v_fma_f32 v139, 0xbf1a4643, v12, -v50
	v_fmac_f32_e32 v42, 0xbe8c1d8e, v8
	v_fma_f32 v154, 0x3dbcf732, v151, -v154
	v_fmac_f32_e32 v40, 0x3dbcf732, v8
	;; [unrolled: 2-line block ×3, first 2 shown]
	v_fma_f32 v8, 0xbf7ba420, v11, -v10
	v_fma_f32 v10, 0x3f3d2fb0, v12, -v48
	v_mul_f32_e32 v53, 0x3f763a35, v13
	v_mul_f32_e32 v49, 0xbf7ee86f, v13
	;; [unrolled: 1-line block ×3, first 2 shown]
	v_fma_f32 v41, 0x3dbcf732, v11, -v41
	v_dual_add_f32 v10, v10, v55 :: v_dual_add_f32 v55, v33, v56
	v_fma_f32 v142, 0xbf7ba420, v12, -v51
	v_dual_mul_f32 v157, 0xbe3c28d5, v150 :: v_dual_add_f32 v36, v32, v36
	v_add_f32_e32 v37, v154, v37
	s_delay_alu instid0(VALU_DEP_4)
	v_add_f32_e32 v55, v162, v55
	v_dual_fmac_f32 v51, 0xbf7ba420, v12 :: v_dual_add_f32 v14, v32, v14
	v_add_f32_e32 v40, v32, v40
	v_fmamk_f32 v132, v11, 0xbe8c1d8e, v43
	v_fma_f32 v43, 0xbe8c1d8e, v11, -v43
	v_fma_f32 v45, 0xbf1a4643, v11, -v45
	v_fmamk_f32 v136, v11, 0xbf59a7d5, v47
	v_fma_f32 v47, 0xbf59a7d5, v11, -v47
	v_fma_f32 v11, 0x3dbcf732, v12, -v49
	v_fmac_f32_e32 v49, 0x3dbcf732, v12
	v_dual_fmac_f32 v50, 0xbf1a4643, v12 :: v_dual_add_f32 v41, v33, v41
	v_fma_f32 v143, 0xbf59a7d5, v12, -v52
	v_fma_f32 v146, 0xbe8c1d8e, v12, -v53
	;; [unrolled: 1-line block ×3, first 2 shown]
	v_fmac_f32_e32 v54, 0x3ee437d1, v12
	v_mul_f32_e32 v159, 0x3f763a35, v150
	v_add_f32_e32 v15, v153, v15
	v_dual_fmamk_f32 v167, v151, 0xbf7ba420, v157 :: v_dual_add_f32 v56, v33, v124
	v_fmac_f32_e32 v48, 0x3f3d2fb0, v12
	v_fmac_f32_e32 v53, 0xbe8c1d8e, v12
	v_fma_f32 v157, 0xbf7ba420, v151, -v157
	v_fmac_f32_e32 v52, 0xbf59a7d5, v12
	v_add_f32_e32 v38, v32, v38
	v_dual_add_f32 v40, v51, v40 :: v_dual_add_f32 v51, v32, v127
	v_mul_f32_e32 v158, 0x3f06c442, v150
	v_mul_f32_e32 v150, 0x3eb8f4ab, v150
	v_fma_f32 v149, 0x3f6eb680, v12, -v13
	v_dual_fmac_f32 v13, 0x3f6eb680, v12 :: v_dual_add_f32 v12, v33, v238
	s_delay_alu instid0(VALU_DEP_3) | instskip(SKIP_2) | instid1(VALU_DEP_4)
	v_dual_add_f32 v5, v5, v191 :: v_dual_fmamk_f32 v200, v151, 0x3f6eb680, v150
	v_add_f32_e32 v14, v48, v14
	v_add_f32_e32 v48, v32, v57
	;; [unrolled: 1-line block ×3, first 2 shown]
	v_dual_add_f32 v36, v49, v36 :: v_dual_add_f32 v49, v32, v59
	v_dual_mul_f32 v59, v131, v29 :: v_dual_add_f32 v38, v50, v38
	v_dual_add_f32 v5, v5, v187 :: v_dual_fmamk_f32 v198, v151, 0xbe8c1d8e, v159
	v_add_f32_e32 v43, v33, v43
	v_dual_add_f32 v11, v11, v48 :: v_dual_add_f32 v48, v33, v58
	v_add_f32_e32 v49, v139, v49
	v_add_f32_e32 v51, v143, v51
	v_dual_fmamk_f32 v195, v151, 0xbf59a7d5, v158 :: v_dual_add_f32 v56, v165, v56
	v_fma_f32 v158, 0xbf59a7d5, v151, -v158
	v_add_f32_e32 v50, v32, v125
	v_dual_add_f32 v42, v32, v42 :: v_dual_add_f32 v5, v5, v183
	v_add_f32_e32 v125, v33, v134
	v_add_f32_e32 v58, v33, v132
	v_fma_f32 v159, 0xbe8c1d8e, v151, -v159
	s_delay_alu instid0(VALU_DEP_4) | instskip(SKIP_1) | instid1(VALU_DEP_4)
	v_dual_add_f32 v41, v157, v41 :: v_dual_add_f32 v42, v52, v42
	v_dual_add_f32 v45, v33, v45 :: v_dual_add_f32 v12, v12, v228
	;; [unrolled: 1-line block ×3, first 2 shown]
	v_add_f32_e32 v5, v5, v179
	s_delay_alu instid0(VALU_DEP_3) | instskip(SKIP_2) | instid1(VALU_DEP_4)
	v_dual_add_f32 v45, v159, v45 :: v_dual_add_f32 v12, v12, v223
	v_fma_f32 v237, v130, v28, -v59
	v_add_f32_e32 v43, v158, v43
	v_dual_add_f32 v5, v5, v164 :: v_dual_add_f32 v124, v228, v227
	v_dual_add_f32 v50, v142, v50 :: v_dual_add_f32 v59, v4, v145
	v_add_f32_e32 v57, v33, v126
	s_delay_alu instid0(VALU_DEP_3) | instskip(SKIP_3) | instid1(VALU_DEP_4)
	v_dual_add_f32 v5, v5, v160 :: v_dual_add_f32 v12, v12, v254
	v_add_f32_e32 v47, v33, v47
	v_fma_f32 v161, 0x3ee437d1, v151, -v161
	v_add_f32_e32 v44, v32, v44
	v_dual_add_f32 v5, v5, v156 :: v_dual_sub_f32 v4, v4, v145
	v_add_f32_e32 v12, v12, v252
	v_dual_add_f32 v132, v33, v136 :: v_dual_add_f32 v9, v32, v9
	s_delay_alu instid0(VALU_DEP_3) | instskip(SKIP_2) | instid1(VALU_DEP_4)
	v_dual_add_f32 v5, v5, v152 :: v_dual_sub_f32 v126, v228, v227
	v_add_f32_e32 v52, v32, v133
	v_add_f32_e32 v8, v33, v8
	;; [unrolled: 1-line block ×3, first 2 shown]
	s_delay_alu instid0(VALU_DEP_4) | instskip(SKIP_1) | instid1(VALU_DEP_2)
	v_dual_add_f32 v5, v5, v148 :: v_dual_add_f32 v12, v12, v250
	v_dual_mul_f32 v238, v130, v29 :: v_dual_mul_f32 v127, 0xbf65296c, v126
	v_dual_add_f32 v130, v32, v135 :: v_dual_add_f32 v5, v5, v144
	s_delay_alu instid0(VALU_DEP_3) | instskip(NEXT) | instid1(VALU_DEP_3)
	v_add_f32_e32 v12, v12, v248
	v_dual_fmac_f32 v238, v131, v28 :: v_dual_mul_f32 v131, 0xbf4c4adb, v126
	s_delay_alu instid0(VALU_DEP_4) | instskip(NEXT) | instid1(VALU_DEP_4)
	v_fma_f32 v133, 0x3ee437d1, v59, -v127
	v_add_f32_e32 v5, v5, v145
	s_delay_alu instid0(VALU_DEP_4) | instskip(SKIP_2) | instid1(VALU_DEP_4)
	v_dual_add_f32 v12, v12, v249 :: v_dual_fmac_f32 v127, 0x3ee437d1, v59
	v_add_f32_e32 v48, v163, v48
	v_add_f32_e32 v39, v155, v39
	;; [unrolled: 1-line block ×3, first 2 shown]
	s_delay_alu instid0(VALU_DEP_4) | instskip(SKIP_2) | instid1(VALU_DEP_4)
	v_add_f32_e32 v12, v12, v251
	v_add_f32_e32 v135, v32, v137
	v_fma_f32 v150, 0x3f6eb680, v151, -v150
	v_dual_add_f32 v57, v167, v57 :: v_dual_add_f32 v154, v5, v6
	v_mul_f32_e32 v6, 0xbf4c4adb, v4
	v_add_f32_e32 v136, v33, v138
	v_add_f32_e32 v33, v161, v47
	v_add_f32_e32 v44, v53, v44
	v_mul_f32_e32 v53, 0xbf65296c, v4
	v_add_f32_e32 v52, v146, v52
	v_fma_f32 v5, 0xbf1a4643, v59, -v131
	v_dual_fmac_f32 v131, 0xbf1a4643, v59 :: v_dual_add_f32 v46, v32, v46
	s_delay_alu instid0(VALU_DEP_4) | instskip(SKIP_1) | instid1(VALU_DEP_4)
	v_fmamk_f32 v134, v124, 0x3ee437d1, v53
	v_fma_f32 v53, 0x3ee437d1, v124, -v53
	v_dual_add_f32 v12, v12, v253 :: v_dual_add_f32 v5, v5, v11
	s_delay_alu instid0(VALU_DEP_4) | instskip(NEXT) | instid1(VALU_DEP_3)
	v_dual_fmamk_f32 v11, v124, 0xbf1a4643, v6 :: v_dual_add_f32 v32, v54, v46
	v_add_f32_e32 v13, v53, v15
	s_delay_alu instid0(VALU_DEP_3) | instskip(NEXT) | instid1(VALU_DEP_3)
	v_dual_mul_f32 v53, 0x3e3c28d5, v4 :: v_dual_add_f32 v12, v12, v222
	v_dual_add_f32 v11, v11, v48 :: v_dual_mul_f32 v48, 0x3f763a35, v126
	v_fma_f32 v6, 0xbf1a4643, v124, -v6
	v_add_f32_e32 v36, v131, v36
	s_delay_alu instid0(VALU_DEP_4) | instskip(SKIP_3) | instid1(VALU_DEP_4)
	v_add_f32_e32 v12, v12, v224
	v_add_f32_e32 v46, v149, v135
	v_fma_f32 v54, 0xbe8c1d8e, v59, -v48
	v_dual_add_f32 v6, v6, v37 :: v_dual_fmamk_f32 v37, v124, 0xbf7ba420, v53
	v_add_f32_e32 v12, v12, v227
	v_add_f32_e32 v132, v199, v132
	s_delay_alu instid0(VALU_DEP_4) | instskip(SKIP_1) | instid1(VALU_DEP_4)
	v_add_f32_e32 v50, v54, v50
	v_dual_add_f32 v130, v147, v130 :: v_dual_add_f32 v47, v200, v136
	v_add_f32_e32 v7, v12, v226
	v_add_f32_e32 v37, v37, v56
	v_dual_mul_f32 v56, 0xbeb8f4ab, v4 :: v_dual_add_f32 v203, v210, v3
	scratch_store_b128 off, v[217:220], off offset:444 ; 16-byte Folded Spill
	v_add_f32_e32 v155, v7, v225
	v_add_f32_e32 v7, v127, v14
	v_mul_f32_e32 v14, 0x3e3c28d5, v126
	v_dual_add_f32 v12, v134, v55 :: v_dual_mul_f32 v55, 0x3f2c7751, v4
	v_sub_f32_e32 v200, v210, v3
	v_add_f32_e32 v202, v20, v232
	s_delay_alu instid0(VALU_DEP_4) | instskip(SKIP_2) | instid1(VALU_DEP_3)
	v_fma_f32 v15, 0xbf7ba420, v59, -v14
	v_fmac_f32_e32 v14, 0xbf7ba420, v59
	v_add_f32_e32 v226, v212, v221
	v_add_f32_e32 v15, v15, v49
	v_fma_f32 v49, 0xbf7ba420, v124, -v53
	s_delay_alu instid0(VALU_DEP_4) | instskip(SKIP_1) | instid1(VALU_DEP_3)
	v_dual_add_f32 v14, v14, v38 :: v_dual_mul_f32 v53, 0x3f763a35, v4
	v_add_f32_e32 v8, v150, v8
	v_dual_add_f32 v38, v49, v39 :: v_dual_mul_f32 v49, 0x3f2c7751, v126
	s_delay_alu instid0(VALU_DEP_3) | instskip(SKIP_1) | instid1(VALU_DEP_3)
	v_dual_fmamk_f32 v39, v124, 0xbe8c1d8e, v53 :: v_dual_add_f32 v10, v133, v10
	v_fma_f32 v53, 0xbe8c1d8e, v124, -v53
	v_fma_f32 v54, 0x3f3d2fb0, v59, -v49
	s_delay_alu instid0(VALU_DEP_3) | instskip(SKIP_1) | instid1(VALU_DEP_4)
	v_add_f32_e32 v39, v39, v57
	v_fmac_f32_e32 v49, 0x3f3d2fb0, v59
	v_add_f32_e32 v41, v53, v41
	v_fmamk_f32 v53, v124, 0x3f3d2fb0, v55
	v_add_f32_e32 v51, v54, v51
	v_fma_f32 v54, 0x3f3d2fb0, v124, -v55
	v_add_f32_e32 v42, v49, v42
	s_delay_alu instid0(VALU_DEP_4) | instskip(NEXT) | instid1(VALU_DEP_3)
	v_add_f32_e32 v53, v53, v58
	v_add_f32_e32 v43, v54, v43
	v_fmac_f32_e32 v48, 0xbe8c1d8e, v59
	v_mul_f32_e32 v54, 0xbf7ee86f, v126
	s_delay_alu instid0(VALU_DEP_1) | instskip(NEXT) | instid1(VALU_DEP_3)
	v_fma_f32 v57, 0x3dbcf732, v59, -v54
	v_add_f32_e32 v40, v48, v40
	v_mul_f32_e32 v48, 0xbeb8f4ab, v126
	s_delay_alu instid0(VALU_DEP_3) | instskip(NEXT) | instid1(VALU_DEP_2)
	v_add_f32_e32 v57, v57, v130
	v_fma_f32 v55, 0x3f6eb680, v59, -v48
	s_delay_alu instid0(VALU_DEP_1) | instskip(SKIP_1) | instid1(VALU_DEP_2)
	v_dual_fmac_f32 v48, 0x3f6eb680, v59 :: v_dual_add_f32 v49, v55, v52
	v_mul_f32_e32 v55, 0xbf7ee86f, v4
	v_add_f32_e32 v44, v48, v44
	v_mul_f32_e32 v4, 0xbf06c442, v4
	s_delay_alu instid0(VALU_DEP_3) | instskip(SKIP_1) | instid1(VALU_DEP_1)
	v_fmamk_f32 v48, v124, 0x3dbcf732, v55
	v_fma_f32 v55, 0x3dbcf732, v124, -v55
	v_add_f32_e32 v33, v55, v33
	s_delay_alu instid0(VALU_DEP_4) | instskip(SKIP_1) | instid1(VALU_DEP_2)
	v_fmamk_f32 v55, v124, 0xbf59a7d5, v4
	v_fma_f32 v4, 0xbf59a7d5, v124, -v4
	v_dual_add_f32 v47, v55, v47 :: v_dual_fmamk_f32 v52, v124, 0x3f6eb680, v56
	v_fma_f32 v56, 0x3f6eb680, v124, -v56
	s_delay_alu instid0(VALU_DEP_1) | instskip(SKIP_1) | instid1(VALU_DEP_2)
	v_dual_add_f32 v45, v56, v45 :: v_dual_mul_f32 v56, 0xbf06c442, v126
	v_sub_f32_e32 v126, v191, v144
	v_fma_f32 v58, 0xbf59a7d5, v59, -v56
	v_fmac_f32_e32 v56, 0xbf59a7d5, v59
	s_delay_alu instid0(VALU_DEP_3) | instskip(NEXT) | instid1(VALU_DEP_3)
	v_mul_f32_e32 v127, 0xbf7ee86f, v126
	v_add_f32_e32 v46, v58, v46
	s_delay_alu instid0(VALU_DEP_3) | instskip(SKIP_2) | instid1(VALU_DEP_2)
	v_dual_add_f32 v58, v191, v144 :: v_dual_add_f32 v9, v56, v9
	v_dual_fmac_f32 v54, 0x3dbcf732, v59 :: v_dual_add_f32 v59, v223, v224
	v_add_f32_e32 v4, v4, v8
	v_add_f32_e32 v32, v54, v32
	v_sub_f32_e32 v54, v223, v224
	v_add_f32_e32 v52, v52, v125
	v_fma_f32 v56, 0x3dbcf732, v59, -v127
	s_delay_alu instid0(VALU_DEP_3) | instskip(SKIP_1) | instid1(VALU_DEP_3)
	v_dual_sub_f32 v224, v21, v19 :: v_dual_mul_f32 v125, 0xbf7ee86f, v54
	v_mul_f32_e32 v55, 0xbe3c28d5, v54
	v_add_f32_e32 v13, v56, v13
	s_delay_alu instid0(VALU_DEP_3) | instskip(NEXT) | instid1(VALU_DEP_1)
	v_fma_f32 v124, 0x3dbcf732, v58, -v125
	v_add_f32_e32 v8, v124, v10
	v_fmamk_f32 v10, v59, 0x3dbcf732, v127
	v_mul_f32_e32 v127, 0x3eb8f4ab, v126
	v_fmac_f32_e32 v125, 0x3dbcf732, v58
	v_mul_f32_e32 v124, 0xbe3c28d5, v126
	s_delay_alu instid0(VALU_DEP_4) | instskip(SKIP_1) | instid1(VALU_DEP_4)
	v_add_f32_e32 v10, v10, v12
	v_fma_f32 v12, 0xbf7ba420, v58, -v55
	v_dual_add_f32 v7, v125, v7 :: v_dual_add_f32 v48, v48, v132
	s_delay_alu instid0(VALU_DEP_4) | instskip(SKIP_1) | instid1(VALU_DEP_4)
	v_dual_fmamk_f32 v56, v59, 0xbf7ba420, v124 :: v_dual_fmac_f32 v55, 0xbf7ba420, v58
	v_mul_f32_e32 v125, 0x3f763a35, v54
	v_add_f32_e32 v5, v12, v5
	v_fma_f32 v12, 0xbf7ba420, v59, -v124
	s_delay_alu instid0(VALU_DEP_4) | instskip(NEXT) | instid1(VALU_DEP_4)
	v_add_f32_e32 v11, v56, v11
	v_fma_f32 v56, 0xbe8c1d8e, v58, -v125
	v_fmac_f32_e32 v125, 0xbe8c1d8e, v58
	v_mul_f32_e32 v124, 0x3f763a35, v126
	s_delay_alu instid0(VALU_DEP_3) | instskip(NEXT) | instid1(VALU_DEP_2)
	v_dual_add_f32 v36, v55, v36 :: v_dual_add_f32 v15, v56, v15
	v_dual_add_f32 v14, v125, v14 :: v_dual_fmamk_f32 v55, v59, 0xbe8c1d8e, v124
	v_fma_f32 v56, 0xbe8c1d8e, v59, -v124
	v_mul_f32_e32 v125, 0xbf65296c, v126
	s_delay_alu instid0(VALU_DEP_3) | instskip(NEXT) | instid1(VALU_DEP_3)
	v_dual_add_f32 v6, v12, v6 :: v_dual_add_f32 v37, v55, v37
	v_dual_add_f32 v38, v56, v38 :: v_dual_fmamk_f32 v55, v59, 0x3f6eb680, v127
	s_delay_alu instid0(VALU_DEP_1) | instskip(NEXT) | instid1(VALU_DEP_1)
	v_dual_mul_f32 v56, 0xbf65296c, v54 :: v_dual_add_f32 v39, v55, v39
	v_fma_f32 v55, 0x3ee437d1, v58, -v56
	s_delay_alu instid0(VALU_DEP_1) | instskip(SKIP_1) | instid1(VALU_DEP_1)
	v_add_f32_e32 v51, v55, v51
	v_fma_f32 v55, 0x3ee437d1, v59, -v125
	v_dual_mul_f32 v12, 0x3eb8f4ab, v54 :: v_dual_add_f32 v43, v55, v43
	s_delay_alu instid0(VALU_DEP_1) | instskip(SKIP_2) | instid1(VALU_DEP_3)
	v_fma_f32 v124, 0x3f6eb680, v58, -v12
	v_fmac_f32_e32 v12, 0x3f6eb680, v58
	v_mul_f32_e32 v55, 0x3f4c4adb, v54
	v_add_f32_e32 v50, v124, v50
	v_fma_f32 v124, 0x3f6eb680, v59, -v127
	s_delay_alu instid0(VALU_DEP_4) | instskip(NEXT) | instid1(VALU_DEP_2)
	v_dual_add_f32 v12, v12, v40 :: v_dual_mul_f32 v127, 0x3f4c4adb, v126
	v_dual_add_f32 v40, v124, v41 :: v_dual_fmamk_f32 v41, v59, 0x3ee437d1, v125
	v_mul_f32_e32 v124, 0xbf06c442, v54
	v_mul_f32_e32 v125, 0xbf06c442, v126
	s_delay_alu instid0(VALU_DEP_3) | instskip(NEXT) | instid1(VALU_DEP_3)
	v_dual_mul_f32 v54, 0x3f2c7751, v54 :: v_dual_add_f32 v41, v41, v53
	v_fma_f32 v53, 0xbf59a7d5, v58, -v124
	s_delay_alu instid0(VALU_DEP_1) | instskip(NEXT) | instid1(VALU_DEP_1)
	v_dual_fmac_f32 v124, 0xbf59a7d5, v58 :: v_dual_add_f32 v49, v53, v49
	v_add_f32_e32 v44, v124, v44
	v_fma_f32 v124, 0xbf1a4643, v59, -v127
	v_fmamk_f32 v53, v59, 0xbf59a7d5, v125
	s_delay_alu instid0(VALU_DEP_2) | instskip(NEXT) | instid1(VALU_DEP_2)
	v_dual_add_f32 v33, v124, v33 :: v_dual_fmac_f32 v56, 0x3ee437d1, v58
	v_add_f32_e32 v52, v53, v52
	v_sub_f32_e32 v124, v187, v148
	s_delay_alu instid0(VALU_DEP_3) | instskip(SKIP_3) | instid1(VALU_DEP_3)
	v_add_f32_e32 v42, v56, v42
	v_fma_f32 v56, 0xbf59a7d5, v59, -v125
	v_fma_f32 v125, 0xbf1a4643, v58, -v55
	v_fmac_f32_e32 v55, 0xbf1a4643, v58
	v_add_f32_e32 v45, v56, v45
	s_delay_alu instid0(VALU_DEP_3) | instskip(NEXT) | instid1(VALU_DEP_3)
	v_dual_add_f32 v53, v125, v57 :: v_dual_fmamk_f32 v56, v59, 0xbf1a4643, v127
	v_dual_mul_f32 v57, 0x3f2c7751, v126 :: v_dual_add_f32 v32, v55, v32
	v_sub_f32_e32 v55, v254, v222
	s_delay_alu instid0(VALU_DEP_2)
	v_fmamk_f32 v125, v59, 0x3f3d2fb0, v57
	v_fma_f32 v57, 0x3f3d2fb0, v59, -v57
	v_mul_f32_e32 v59, 0xbf763a35, v124
	v_add_f32_e32 v48, v56, v48
	v_fma_f32 v56, 0x3f3d2fb0, v58, -v54
	v_fmac_f32_e32 v54, 0x3f3d2fb0, v58
	v_add_f32_e32 v58, v254, v222
	v_add_f32_e32 v4, v57, v4
	v_add_f32_e32 v47, v125, v47
	v_dual_mul_f32 v125, 0xbf763a35, v55 :: v_dual_add_f32 v46, v56, v46
	s_delay_alu instid0(VALU_DEP_4) | instskip(SKIP_1) | instid1(VALU_DEP_2)
	v_dual_fmamk_f32 v57, v58, 0xbe8c1d8e, v59 :: v_dual_add_f32 v56, v187, v148
	v_sub_f32_e32 v222, v211, v209
	v_dual_add_f32 v10, v57, v10 :: v_dual_mul_f32 v57, 0x3f06c442, v124
	v_fma_f32 v59, 0xbe8c1d8e, v58, -v59
	s_delay_alu instid0(VALU_DEP_1) | instskip(SKIP_3) | instid1(VALU_DEP_3)
	v_add_f32_e32 v13, v59, v13
	v_mul_f32_e32 v59, 0x3f2c7751, v55
	v_fma_f32 v126, 0xbe8c1d8e, v56, -v125
	v_fmac_f32_e32 v125, 0xbe8c1d8e, v56
	v_fma_f32 v127, 0x3f3d2fb0, v56, -v59
	s_delay_alu instid0(VALU_DEP_2) | instskip(SKIP_4) | instid1(VALU_DEP_4)
	v_dual_add_f32 v8, v126, v8 :: v_dual_add_f32 v7, v125, v7
	v_fmamk_f32 v125, v58, 0xbf59a7d5, v57
	v_fma_f32 v57, 0xbf59a7d5, v58, -v57
	v_fmac_f32_e32 v59, 0x3f3d2fb0, v56
	v_add_f32_e32 v15, v127, v15
	v_add_f32_e32 v11, v125, v11
	v_dual_add_f32 v9, v54, v9 :: v_dual_mul_f32 v54, 0x3f06c442, v55
	v_dual_add_f32 v6, v57, v6 :: v_dual_mul_f32 v57, 0xbf65296c, v55
	;; [unrolled: 1-line block ×3, first 2 shown]
	s_delay_alu instid0(VALU_DEP_3) | instskip(NEXT) | instid1(VALU_DEP_1)
	v_fma_f32 v126, 0xbf59a7d5, v56, -v54
	v_dual_fmac_f32 v54, 0xbf59a7d5, v56 :: v_dual_add_f32 v5, v126, v5
	v_mul_f32_e32 v126, 0x3f2c7751, v124
	s_delay_alu instid0(VALU_DEP_2) | instskip(NEXT) | instid1(VALU_DEP_2)
	v_add_f32_e32 v36, v54, v36
	v_fmamk_f32 v54, v58, 0x3f3d2fb0, v126
	s_delay_alu instid0(VALU_DEP_1) | instskip(SKIP_2) | instid1(VALU_DEP_2)
	v_add_f32_e32 v37, v54, v37
	v_fma_f32 v125, 0x3f3d2fb0, v58, -v126
	v_fma_f32 v126, 0x3ee437d1, v56, -v57
	v_dual_fmac_f32 v57, 0x3ee437d1, v56 :: v_dual_add_f32 v38, v125, v38
	s_delay_alu instid0(VALU_DEP_2) | instskip(SKIP_1) | instid1(VALU_DEP_1)
	v_add_f32_e32 v50, v126, v50
	v_fma_f32 v126, 0xbf7ba420, v56, -v59
	v_dual_mul_f32 v54, 0xbf65296c, v124 :: v_dual_add_f32 v51, v126, v51
	s_delay_alu instid0(VALU_DEP_1) | instskip(SKIP_1) | instid1(VALU_DEP_2)
	v_fmamk_f32 v125, v58, 0x3ee437d1, v54
	v_fma_f32 v54, 0x3ee437d1, v58, -v54
	v_dual_mul_f32 v126, 0x3f7ee86f, v124 :: v_dual_add_f32 v39, v125, v39
	v_mul_f32_e32 v125, 0xbe3c28d5, v124
	v_add_f32_e32 v12, v57, v12
	s_delay_alu instid0(VALU_DEP_4) | instskip(NEXT) | instid1(VALU_DEP_3)
	v_add_f32_e32 v40, v54, v40
	v_fmamk_f32 v57, v58, 0xbf7ba420, v125
	v_fma_f32 v125, 0xbf7ba420, v58, -v125
	s_delay_alu instid0(VALU_DEP_2) | instskip(NEXT) | instid1(VALU_DEP_2)
	v_add_f32_e32 v41, v57, v41
	v_add_f32_e32 v43, v125, v43
	v_fma_f32 v125, 0x3dbcf732, v58, -v126
	v_mul_f32_e32 v54, 0x3f7ee86f, v55
	v_fmamk_f32 v57, v58, 0x3dbcf732, v126
	s_delay_alu instid0(VALU_DEP_3) | instskip(NEXT) | instid1(VALU_DEP_3)
	v_add_f32_e32 v45, v125, v45
	v_fma_f32 v127, 0x3dbcf732, v56, -v54
	v_fmac_f32_e32 v54, 0x3dbcf732, v56
	s_delay_alu instid0(VALU_DEP_4) | instskip(SKIP_1) | instid1(VALU_DEP_3)
	v_add_f32_e32 v52, v57, v52
	v_mul_f32_e32 v57, 0xbeb8f4ab, v124
	v_dual_add_f32 v49, v127, v49 :: v_dual_add_f32 v44, v54, v44
	v_mul_f32_e32 v54, 0xbf4c4adb, v55
	s_delay_alu instid0(VALU_DEP_1) | instskip(NEXT) | instid1(VALU_DEP_1)
	v_fma_f32 v125, 0xbf1a4643, v56, -v54
	v_dual_fmac_f32 v59, 0xbf7ba420, v56 :: v_dual_add_f32 v46, v125, v46
	s_delay_alu instid0(VALU_DEP_1) | instskip(NEXT) | instid1(VALU_DEP_1)
	v_dual_add_f32 v42, v59, v42 :: v_dual_mul_f32 v59, 0xbeb8f4ab, v55
	v_fma_f32 v126, 0x3f6eb680, v56, -v59
	v_fmac_f32_e32 v59, 0x3f6eb680, v56
	v_fmamk_f32 v55, v58, 0x3f6eb680, v57
	v_fma_f32 v57, 0x3f6eb680, v58, -v57
	s_delay_alu instid0(VALU_DEP_3) | instskip(NEXT) | instid1(VALU_DEP_3)
	v_dual_add_f32 v53, v126, v53 :: v_dual_add_f32 v32, v59, v32
	v_add_f32_e32 v48, v55, v48
	v_mul_f32_e32 v55, 0xbf4c4adb, v124
	s_delay_alu instid0(VALU_DEP_4) | instskip(SKIP_1) | instid1(VALU_DEP_3)
	v_add_f32_e32 v33, v57, v33
	v_sub_f32_e32 v57, v252, v253
	v_dual_fmamk_f32 v59, v58, 0xbf1a4643, v55 :: v_dual_fmac_f32 v54, 0xbf1a4643, v56
	s_delay_alu instid0(VALU_DEP_2) | instskip(SKIP_1) | instid1(VALU_DEP_3)
	v_dual_sub_f32 v56, v183, v152 :: v_dual_mul_f32 v125, 0xbf4c4adb, v57
	v_fma_f32 v55, 0xbf1a4643, v58, -v55
	v_add_f32_e32 v47, v59, v47
	s_delay_alu instid0(VALU_DEP_4) | instskip(SKIP_1) | instid1(VALU_DEP_4)
	v_dual_add_f32 v124, v183, v152 :: v_dual_add_f32 v9, v54, v9
	v_add_f32_e32 v58, v252, v253
	v_dual_add_f32 v4, v55, v4 :: v_dual_mul_f32 v55, 0x3f763a35, v57
	s_delay_alu instid0(VALU_DEP_3) | instskip(SKIP_2) | instid1(VALU_DEP_2)
	v_fma_f32 v59, 0xbf1a4643, v124, -v125
	v_fmac_f32_e32 v125, 0xbf1a4643, v124
	v_mul_f32_e32 v126, 0xbf4c4adb, v56
	v_dual_add_f32 v8, v59, v8 :: v_dual_add_f32 v7, v125, v7
	s_delay_alu instid0(VALU_DEP_2) | instskip(NEXT) | instid1(VALU_DEP_1)
	v_fma_f32 v59, 0xbf1a4643, v58, -v126
	v_dual_fmamk_f32 v54, v58, 0xbf1a4643, v126 :: v_dual_add_f32 v13, v59, v13
	s_delay_alu instid0(VALU_DEP_1) | instskip(SKIP_4) | instid1(VALU_DEP_4)
	v_add_f32_e32 v10, v54, v10
	v_fma_f32 v54, 0xbe8c1d8e, v124, -v55
	v_mul_f32_e32 v126, 0x3f763a35, v56
	v_mul_f32_e32 v59, 0xbeb8f4ab, v57
	v_fmac_f32_e32 v55, 0xbe8c1d8e, v124
	v_add_f32_e32 v5, v54, v5
	s_delay_alu instid0(VALU_DEP_4)
	v_fmamk_f32 v54, v58, 0xbe8c1d8e, v126
	v_fma_f32 v125, 0xbe8c1d8e, v58, -v126
	v_fma_f32 v126, 0x3f6eb680, v124, -v59
	v_mul_f32_e32 v127, 0xbeb8f4ab, v56
	v_fmac_f32_e32 v59, 0x3f6eb680, v124
	v_dual_add_f32 v11, v54, v11 :: v_dual_add_f32 v36, v55, v36
	s_delay_alu instid0(VALU_DEP_4) | instskip(SKIP_3) | instid1(VALU_DEP_4)
	v_dual_add_f32 v15, v126, v15 :: v_dual_mul_f32 v126, 0xbf06c442, v56
	v_add_f32_e32 v6, v125, v6
	v_fma_f32 v125, 0x3f6eb680, v58, -v127
	v_dual_mul_f32 v55, 0xbf06c442, v57 :: v_dual_add_f32 v14, v59, v14
	v_fmamk_f32 v59, v58, 0xbf59a7d5, v126
	v_fmamk_f32 v54, v58, 0x3f6eb680, v127
	s_delay_alu instid0(VALU_DEP_4) | instskip(NEXT) | instid1(VALU_DEP_3)
	v_dual_add_f32 v38, v125, v38 :: v_dual_mul_f32 v127, 0xbf2c7751, v56
	v_add_f32_e32 v39, v59, v39
	s_delay_alu instid0(VALU_DEP_3) | instskip(SKIP_1) | instid1(VALU_DEP_1)
	v_add_f32_e32 v37, v54, v37
	v_fma_f32 v54, 0xbf59a7d5, v124, -v55
	v_add_f32_e32 v50, v54, v50
	v_fma_f32 v54, 0xbf59a7d5, v58, -v126
	v_dual_mul_f32 v126, 0x3f7ee86f, v56 :: v_dual_mul_f32 v125, 0x3f7ee86f, v57
	s_delay_alu instid0(VALU_DEP_2) | instskip(NEXT) | instid1(VALU_DEP_2)
	v_add_f32_e32 v40, v54, v40
	v_fma_f32 v59, 0x3dbcf732, v124, -v125
	v_fmac_f32_e32 v125, 0x3dbcf732, v124
	v_fmac_f32_e32 v55, 0xbf59a7d5, v124
	s_delay_alu instid0(VALU_DEP_3) | instskip(NEXT) | instid1(VALU_DEP_3)
	v_dual_mul_f32 v54, 0xbf2c7751, v57 :: v_dual_add_f32 v51, v59, v51
	v_add_f32_e32 v42, v125, v42
	s_delay_alu instid0(VALU_DEP_3) | instskip(SKIP_1) | instid1(VALU_DEP_4)
	v_dual_add_f32 v12, v55, v12 :: v_dual_fmamk_f32 v55, v58, 0x3dbcf732, v126
	v_fma_f32 v59, 0x3dbcf732, v58, -v126
	v_fma_f32 v126, 0x3f3d2fb0, v124, -v54
	v_fmac_f32_e32 v54, 0x3f3d2fb0, v124
	v_mul_f32_e32 v125, 0xbe3c28d5, v56
	v_add_f32_e32 v41, v55, v41
	v_add_f32_e32 v43, v59, v43
	v_fmamk_f32 v55, v58, 0x3f3d2fb0, v127
	v_add_f32_e32 v49, v126, v49
	v_fma_f32 v126, 0x3f3d2fb0, v58, -v127
	v_add_f32_e32 v44, v54, v44
	v_fmamk_f32 v54, v58, 0xbf7ba420, v125
	v_mul_f32_e32 v59, 0xbe3c28d5, v57
	s_delay_alu instid0(VALU_DEP_4)
	v_dual_mul_f32 v56, 0x3f65296c, v56 :: v_dual_add_f32 v45, v126, v45
	v_sub_f32_e32 v126, v179, v156
	v_add_f32_e32 v52, v55, v52
	v_add_f32_e32 v48, v54, v48
	v_fma_f32 v55, 0xbf7ba420, v124, -v59
	v_fmac_f32_e32 v59, 0xbf7ba420, v124
	v_fma_f32 v54, 0xbf7ba420, v58, -v125
	v_mul_f32_e32 v127, 0xbf06c442, v126
	s_delay_alu instid0(VALU_DEP_4) | instskip(NEXT) | instid1(VALU_DEP_4)
	v_add_f32_e32 v53, v55, v53
	v_dual_add_f32 v32, v59, v32 :: v_dual_sub_f32 v59, v250, v251
	s_delay_alu instid0(VALU_DEP_4)
	v_add_f32_e32 v33, v54, v33
	v_fmamk_f32 v54, v58, 0x3ee437d1, v56
	v_fma_f32 v56, 0x3ee437d1, v58, -v56
	v_mul_f32_e32 v57, 0x3f65296c, v57
	v_mul_f32_e32 v125, 0xbf06c442, v59
	v_add_f32_e32 v58, v250, v251
	s_delay_alu instid0(VALU_DEP_4) | instskip(NEXT) | instid1(VALU_DEP_4)
	v_add_f32_e32 v4, v56, v4
	v_fma_f32 v55, 0x3ee437d1, v124, -v57
	s_delay_alu instid0(VALU_DEP_1) | instskip(SKIP_4) | instid1(VALU_DEP_4)
	v_add_f32_e32 v46, v55, v46
	v_add_f32_e32 v55, v179, v156
	v_fmac_f32_e32 v57, 0x3ee437d1, v124
	v_add_f32_e32 v47, v54, v47
	v_fmamk_f32 v54, v58, 0xbf59a7d5, v127
	v_fma_f32 v124, 0xbf59a7d5, v55, -v125
	s_delay_alu instid0(VALU_DEP_2) | instskip(NEXT) | instid1(VALU_DEP_2)
	v_add_f32_e32 v10, v54, v10
	v_add_f32_e32 v8, v124, v8
	v_mul_f32_e32 v56, 0x3f65296c, v59
	v_mul_f32_e32 v124, 0x3f65296c, v126
	s_delay_alu instid0(VALU_DEP_2) | instskip(SKIP_3) | instid1(VALU_DEP_3)
	v_fma_f32 v54, 0x3ee437d1, v55, -v56
	v_dual_fmac_f32 v56, 0x3ee437d1, v55 :: v_dual_add_f32 v9, v57, v9
	v_fma_f32 v57, 0xbf59a7d5, v58, -v127
	v_mul_f32_e32 v127, 0x3f4c4adb, v126
	v_dual_add_f32 v5, v54, v5 :: v_dual_add_f32 v36, v56, v36
	v_fmac_f32_e32 v125, 0xbf59a7d5, v55
	s_delay_alu instid0(VALU_DEP_4) | instskip(SKIP_2) | instid1(VALU_DEP_4)
	v_add_f32_e32 v13, v57, v13
	v_fmamk_f32 v57, v58, 0x3ee437d1, v124
	v_fma_f32 v54, 0x3ee437d1, v58, -v124
	v_dual_mul_f32 v124, 0xbf7ee86f, v126 :: v_dual_add_f32 v7, v125, v7
	v_mul_f32_e32 v125, 0xbf7ee86f, v59
	s_delay_alu instid0(VALU_DEP_3) | instskip(NEXT) | instid1(VALU_DEP_3)
	v_dual_add_f32 v11, v57, v11 :: v_dual_add_f32 v6, v54, v6
	v_fmamk_f32 v56, v58, 0x3dbcf732, v124
	v_mul_f32_e32 v54, 0x3f4c4adb, v59
	s_delay_alu instid0(VALU_DEP_4) | instskip(NEXT) | instid1(VALU_DEP_1)
	v_fma_f32 v57, 0x3dbcf732, v55, -v125
	v_add_f32_e32 v15, v57, v15
	v_fma_f32 v57, 0x3dbcf732, v58, -v124
	s_delay_alu instid0(VALU_DEP_4) | instskip(SKIP_1) | instid1(VALU_DEP_3)
	v_fma_f32 v124, 0xbf1a4643, v55, -v54
	v_fmac_f32_e32 v54, 0xbf1a4643, v55
	v_add_f32_e32 v38, v57, v38
	s_delay_alu instid0(VALU_DEP_3) | instskip(SKIP_1) | instid1(VALU_DEP_4)
	v_add_f32_e32 v50, v124, v50
	v_fma_f32 v124, 0xbf1a4643, v58, -v127
	v_dual_fmac_f32 v125, 0x3dbcf732, v55 :: v_dual_add_f32 v12, v54, v12
	s_delay_alu instid0(VALU_DEP_2) | instskip(NEXT) | instid1(VALU_DEP_2)
	v_add_f32_e32 v40, v124, v40
	v_add_f32_e32 v14, v125, v14
	v_mul_f32_e32 v125, 0xbeb8f4ab, v126
	v_dual_add_f32 v37, v56, v37 :: v_dual_fmamk_f32 v56, v58, 0xbf1a4643, v127
	v_mul_f32_e32 v127, 0x3f2c7751, v126
	s_delay_alu instid0(VALU_DEP_3) | instskip(SKIP_1) | instid1(VALU_DEP_4)
	v_fmamk_f32 v54, v58, 0x3f6eb680, v125
	v_mul_f32_e32 v124, 0xbe3c28d5, v59
	v_add_f32_e32 v39, v56, v39
	s_delay_alu instid0(VALU_DEP_3) | instskip(NEXT) | instid1(VALU_DEP_3)
	v_add_f32_e32 v41, v54, v41
	v_fma_f32 v54, 0xbf7ba420, v55, -v124
	v_fmac_f32_e32 v124, 0xbf7ba420, v55
	v_mul_f32_e32 v57, 0xbeb8f4ab, v59
	s_delay_alu instid0(VALU_DEP_2) | instskip(NEXT) | instid1(VALU_DEP_2)
	v_dual_add_f32 v49, v54, v49 :: v_dual_add_f32 v44, v124, v44
	v_fma_f32 v56, 0x3f6eb680, v55, -v57
	v_fmac_f32_e32 v57, 0x3f6eb680, v55
	v_fma_f32 v124, 0x3f3d2fb0, v58, -v127
	s_delay_alu instid0(VALU_DEP_3) | instskip(SKIP_2) | instid1(VALU_DEP_4)
	v_add_f32_e32 v51, v56, v51
	v_fma_f32 v56, 0x3f6eb680, v58, -v125
	v_mul_f32_e32 v125, 0xbe3c28d5, v126
	v_dual_add_f32 v42, v57, v42 :: v_dual_add_f32 v33, v124, v33
	v_sub_f32_e32 v124, v248, v249
	s_delay_alu instid0(VALU_DEP_4) | instskip(SKIP_3) | instid1(VALU_DEP_3)
	v_add_f32_e32 v43, v56, v43
	v_mul_f32_e32 v56, 0x3f2c7751, v59
	v_fmamk_f32 v54, v58, 0xbf7ba420, v125
	v_fma_f32 v57, 0xbf7ba420, v58, -v125
	v_fma_f32 v125, 0x3f3d2fb0, v55, -v56
	s_delay_alu instid0(VALU_DEP_2) | instskip(SKIP_2) | instid1(VALU_DEP_4)
	v_dual_fmac_f32 v56, 0x3f3d2fb0, v55 :: v_dual_add_f32 v45, v57, v45
	v_mul_f32_e32 v57, 0xbf763a35, v59
	v_mul_f32_e32 v59, 0xbf763a35, v126
	v_dual_add_f32 v53, v125, v53 :: v_dual_add_f32 v52, v54, v52
	v_fmamk_f32 v54, v58, 0x3f3d2fb0, v127
	v_add_f32_e32 v56, v56, v32
	s_delay_alu instid0(VALU_DEP_4) | instskip(SKIP_1) | instid1(VALU_DEP_4)
	v_fma_f32 v32, 0xbe8c1d8e, v58, -v59
	v_dual_mul_f32 v126, 0xbe3c28d5, v124 :: v_dual_sub_f32 v127, v22, v18
	v_add_f32_e32 v48, v54, v48
	v_fma_f32 v54, 0xbe8c1d8e, v55, -v57
	s_delay_alu instid0(VALU_DEP_4) | instskip(SKIP_1) | instid1(VALU_DEP_3)
	v_dual_add_f32 v32, v32, v4 :: v_dual_fmamk_f32 v125, v58, 0xbe8c1d8e, v59
	v_dual_mul_f32 v4, 0x3eb8f4ab, v124 :: v_dual_add_f32 v225, v211, v209
	v_add_f32_e32 v46, v54, v46
	s_delay_alu instid0(VALU_DEP_3) | instskip(SKIP_3) | instid1(VALU_DEP_4)
	v_dual_add_f32 v54, v164, v160 :: v_dual_add_f32 v47, v125, v47
	v_sub_f32_e32 v125, v164, v160
	v_fmac_f32_e32 v57, 0xbe8c1d8e, v55
	v_add_f32_e32 v55, v248, v249
	v_fma_f32 v59, 0xbf7ba420, v54, -v126
	v_fmac_f32_e32 v126, 0xbf7ba420, v54
	v_mul_f32_e32 v58, 0xbe3c28d5, v125
	s_delay_alu instid0(VALU_DEP_3) | instskip(NEXT) | instid1(VALU_DEP_3)
	v_dual_add_f32 v9, v57, v9 :: v_dual_add_f32 v164, v59, v8
	v_add_f32_e32 v130, v126, v7
	s_delay_alu instid0(VALU_DEP_3) | instskip(SKIP_3) | instid1(VALU_DEP_4)
	v_fma_f32 v8, 0xbf7ba420, v55, -v58
	v_fmamk_f32 v57, v55, 0xbf7ba420, v58
	v_fma_f32 v58, 0x3f6eb680, v54, -v4
	v_dual_fmac_f32 v4, 0x3f6eb680, v54 :: v_dual_sub_f32 v59, v190, v175
	v_add_f32_e32 v131, v8, v13
	v_mul_f32_e32 v8, 0xbf06c442, v125
	s_delay_alu instid0(VALU_DEP_4) | instskip(NEXT) | instid1(VALU_DEP_4)
	v_dual_add_f32 v160, v58, v5 :: v_dual_mul_f32 v5, 0xbf06c442, v124
	v_dual_add_f32 v132, v4, v36 :: v_dual_add_f32 v165, v57, v10
	v_dual_mul_f32 v10, 0x3eb8f4ab, v125 :: v_dual_add_f32 v57, v190, v175
	s_delay_alu instid0(VALU_DEP_3) | instskip(SKIP_1) | instid1(VALU_DEP_3)
	v_fma_f32 v13, 0xbf59a7d5, v54, -v5
	v_fmac_f32_e32 v5, 0xbf59a7d5, v54
	v_dual_add_f32 v126, v22, v18 :: v_dual_fmamk_f32 v7, v55, 0x3f6eb680, v10
	v_fma_f32 v10, 0x3f6eb680, v55, -v10
	s_delay_alu instid0(VALU_DEP_4) | instskip(SKIP_1) | instid1(VALU_DEP_4)
	v_add_f32_e32 v162, v13, v15
	v_fmamk_f32 v4, v55, 0xbf59a7d5, v8
	v_dual_add_f32 v134, v5, v14 :: v_dual_add_f32 v161, v7, v11
	s_delay_alu instid0(VALU_DEP_4) | instskip(SKIP_1) | instid1(VALU_DEP_4)
	v_dual_add_f32 v133, v10, v6 :: v_dual_mul_f32 v6, 0x3f2c7751, v124
	v_mul_f32_e32 v7, 0x3f2c7751, v125
	v_add_f32_e32 v163, v4, v37
	v_fma_f32 v4, 0xbf59a7d5, v55, -v8
	s_delay_alu instid0(VALU_DEP_4) | instskip(NEXT) | instid1(VALU_DEP_4)
	v_fma_f32 v8, 0x3f3d2fb0, v54, -v6
	v_fmamk_f32 v10, v55, 0x3f3d2fb0, v7
	v_fmac_f32_e32 v6, 0x3f3d2fb0, v54
	v_fma_f32 v5, 0x3f3d2fb0, v55, -v7
	s_delay_alu instid0(VALU_DEP_4)
	v_dual_mul_f32 v7, 0xbf4c4adb, v125 :: v_dual_add_f32 v156, v8, v50
	v_add_f32_e32 v135, v4, v38
	v_add_f32_e32 v157, v10, v39
	;; [unrolled: 1-line block ×3, first 2 shown]
	v_mul_f32_e32 v6, 0xbf4c4adb, v124
	v_fmamk_f32 v10, v55, 0xbf1a4643, v7
	v_add_f32_e32 v8, v35, v247
	v_dual_add_f32 v4, v34, v194 :: v_dual_add_f32 v137, v5, v40
	s_delay_alu instid0(VALU_DEP_4) | instskip(NEXT) | instid1(VALU_DEP_3)
	v_fma_f32 v5, 0xbf1a4643, v54, -v6
	v_dual_add_f32 v159, v10, v41 :: v_dual_add_f32 v8, v8, v246
	s_delay_alu instid0(VALU_DEP_3) | instskip(NEXT) | instid1(VALU_DEP_2)
	v_add_f32_e32 v4, v4, v190
	v_dual_add_f32 v158, v5, v51 :: v_dual_add_f32 v5, v8, v245
	s_delay_alu instid0(VALU_DEP_1) | instskip(NEXT) | instid1(VALU_DEP_1)
	v_dual_mul_f32 v8, 0x3f65296c, v125 :: v_dual_add_f32 v5, v5, v244
	v_dual_fmac_f32 v6, 0xbf1a4643, v54 :: v_dual_add_f32 v5, v5, v243
	s_delay_alu instid0(VALU_DEP_1) | instskip(SKIP_2) | instid1(VALU_DEP_4)
	v_add_f32_e32 v138, v6, v42
	v_fma_f32 v6, 0xbf1a4643, v55, -v7
	v_dual_mul_f32 v7, 0x3f65296c, v124 :: v_dual_add_f32 v4, v4, v186
	v_add_f32_e32 v5, v5, v242
	s_delay_alu instid0(VALU_DEP_3) | instskip(NEXT) | instid1(VALU_DEP_3)
	v_add_f32_e32 v139, v6, v43
	v_fma_f32 v6, 0x3ee437d1, v54, -v7
	s_delay_alu instid0(VALU_DEP_3) | instskip(SKIP_1) | instid1(VALU_DEP_2)
	v_dual_add_f32 v4, v4, v180 :: v_dual_add_f32 v5, v5, v193
	v_dual_fmamk_f32 v10, v55, 0x3ee437d1, v8 :: v_dual_fmac_f32 v7, 0x3ee437d1, v54
	v_dual_add_f32 v150, v6, v49 :: v_dual_add_f32 v5, v5, v192
	s_delay_alu instid0(VALU_DEP_2)
	v_add_f32_e32 v151, v10, v52
	v_fma_f32 v6, 0x3ee437d1, v55, -v8
	v_add_f32_e32 v4, v4, v176
	v_add_f32_e32 v142, v7, v44
	v_dual_mul_f32 v7, 0xbf763a35, v124 :: v_dual_mul_f32 v8, 0xbf763a35, v125
	v_add_f32_e32 v5, v5, v188
	s_delay_alu instid0(VALU_DEP_4) | instskip(NEXT) | instid1(VALU_DEP_3)
	v_dual_add_f32 v143, v6, v45 :: v_dual_add_f32 v4, v4, v172
	v_fma_f32 v6, 0xbe8c1d8e, v54, -v7
	v_fmac_f32_e32 v7, 0xbe8c1d8e, v54
	s_delay_alu instid0(VALU_DEP_4) | instskip(NEXT) | instid1(VALU_DEP_4)
	v_dual_add_f32 v5, v5, v189 :: v_dual_fmamk_f32 v10, v55, 0xbe8c1d8e, v8
	v_add_f32_e32 v4, v4, v168
	s_delay_alu instid0(VALU_DEP_3) | instskip(NEXT) | instid1(VALU_DEP_3)
	v_add_f32_e32 v144, v7, v56
	v_add_f32_e32 v5, v5, v184
	s_delay_alu instid0(VALU_DEP_4) | instskip(NEXT) | instid1(VALU_DEP_4)
	v_add_f32_e32 v153, v10, v48
	v_add_f32_e32 v4, v4, v140
	v_dual_mul_f32 v7, 0x3f7ee86f, v124 :: v_dual_add_f32 v152, v6, v53
	s_delay_alu instid0(VALU_DEP_4) | instskip(SKIP_1) | instid1(VALU_DEP_4)
	v_add_f32_e32 v5, v5, v185
	v_fma_f32 v6, 0xbe8c1d8e, v55, -v8
	v_add_f32_e32 v4, v4, v141
	s_delay_alu instid0(VALU_DEP_3) | instskip(NEXT) | instid1(VALU_DEP_3)
	v_add_f32_e32 v36, v5, v181
	v_add_f32_e32 v145, v6, v33
	s_delay_alu instid0(VALU_DEP_3) | instskip(SKIP_3) | instid1(VALU_DEP_4)
	v_add_f32_e32 v4, v4, v169
	v_fma_f32 v6, 0x3dbcf732, v54, -v7
	v_fmac_f32_e32 v7, 0x3dbcf732, v54
	v_add_f32_e32 v5, v36, v182
	v_add_f32_e32 v4, v4, v170
	s_delay_alu instid0(VALU_DEP_3) | instskip(NEXT) | instid1(VALU_DEP_2)
	v_dual_add_f32 v148, v7, v9 :: v_dual_sub_f32 v7, v194, v166
	v_dual_add_f32 v5, v5, v177 :: v_dual_add_f32 v4, v4, v171
	s_delay_alu instid0(VALU_DEP_2) | instskip(NEXT) | instid1(VALU_DEP_2)
	v_mul_f32_e32 v11, 0xbeb8f4ab, v7
	v_dual_add_f32 v167, v5, v178 :: v_dual_add_f32 v4, v4, v173
	v_mul_f32_e32 v8, 0x3f7ee86f, v125
	v_mul_f32_e32 v39, 0xbf7ee86f, v7
	;; [unrolled: 1-line block ×4, first 2 shown]
	v_add_f32_e32 v37, v4, v174
	v_fma_f32 v33, 0x3dbcf732, v55, -v8
	v_dual_fmamk_f32 v10, v55, 0x3dbcf732, v8 :: v_dual_sub_f32 v55, v246, v177
	s_delay_alu instid0(VALU_DEP_2) | instskip(NEXT) | instid1(VALU_DEP_2)
	v_add_f32_e32 v149, v33, v32
	v_dual_add_f32 v147, v10, v47 :: v_dual_add_f32 v10, v247, v178
	s_delay_alu instid0(VALU_DEP_1) | instskip(SKIP_1) | instid1(VALU_DEP_2)
	v_fmamk_f32 v5, v10, 0x3f6eb680, v11
	v_fma_f32 v11, 0x3f6eb680, v10, -v11
	v_dual_add_f32 v8, v194, v166 :: v_dual_add_f32 v5, v35, v5
	s_delay_alu instid0(VALU_DEP_2) | instskip(SKIP_2) | instid1(VALU_DEP_2)
	v_add_f32_e32 v11, v35, v11
	v_sub_f32_e32 v4, v247, v178
	v_add_f32_e32 v146, v6, v46
	v_dual_add_f32 v6, v37, v175 :: v_dual_mul_f32 v9, 0xbeb8f4ab, v4
	s_delay_alu instid0(VALU_DEP_1) | instskip(NEXT) | instid1(VALU_DEP_2)
	v_fma_f32 v12, 0x3f6eb680, v8, -v9
	v_dual_fmac_f32 v9, 0x3f6eb680, v8 :: v_dual_add_f32 v166, v6, v166
	v_mul_f32_e32 v15, 0xbf65296c, v4
	v_mul_f32_e32 v6, 0xbf2c7751, v4
	s_delay_alu instid0(VALU_DEP_4) | instskip(NEXT) | instid1(VALU_DEP_4)
	v_add_f32_e32 v12, v34, v12
	v_add_f32_e32 v9, v34, v9
	v_fmamk_f32 v41, v10, 0x3dbcf732, v39
	v_fma_f32 v39, 0x3dbcf732, v10, -v39
	v_mul_f32_e32 v38, 0xbf7ee86f, v4
	v_fma_f32 v13, 0x3f3d2fb0, v8, -v6
	v_mul_f32_e32 v14, 0xbf2c7751, v7
	v_mul_f32_e32 v45, 0xbf4c4adb, v4
	v_add_f32_e32 v39, v35, v39
	v_fma_f32 v40, 0x3dbcf732, v8, -v38
	v_dual_add_f32 v13, v34, v13 :: v_dual_fmac_f32 v38, 0x3dbcf732, v8
	v_dual_mul_f32 v36, 0xbf65296c, v7 :: v_dual_add_f32 v41, v35, v41
	v_fma_f32 v47, 0xbf1a4643, v8, -v45
	s_delay_alu instid0(VALU_DEP_3) | instskip(NEXT) | instid1(VALU_DEP_3)
	v_dual_fmac_f32 v45, 0xbf1a4643, v8 :: v_dual_add_f32 v38, v34, v38
	v_fmamk_f32 v37, v10, 0x3ee437d1, v36
	v_fma_f32 v36, 0x3ee437d1, v10, -v36
	s_delay_alu instid0(VALU_DEP_3) | instskip(SKIP_2) | instid1(VALU_DEP_4)
	v_dual_mul_f32 v48, 0xbf4c4adb, v7 :: v_dual_add_f32 v45, v34, v45
	v_add_f32_e32 v40, v34, v40
	v_mul_f32_e32 v50, 0xbf06c442, v4
	v_add_f32_e32 v36, v35, v36
	v_dual_fmamk_f32 v32, v10, 0x3f3d2fb0, v14 :: v_dual_add_f32 v37, v35, v37
	v_fma_f32 v14, 0x3f3d2fb0, v10, -v14
	v_fmamk_f32 v49, v10, 0xbf1a4643, v48
	v_fma_f32 v48, 0xbf1a4643, v10, -v48
	v_fma_f32 v52, 0xbf59a7d5, v8, -v50
	v_dual_fmamk_f32 v53, v10, 0xbf59a7d5, v51 :: v_dual_fmac_f32 v50, 0xbf59a7d5, v8
	v_add_f32_e32 v14, v35, v14
	s_delay_alu instid0(VALU_DEP_4) | instskip(SKIP_4) | instid1(VALU_DEP_4)
	v_add_f32_e32 v48, v35, v48
	v_dual_mul_f32 v44, 0xbf763a35, v7 :: v_dual_add_f32 v49, v35, v49
	v_fma_f32 v33, 0x3ee437d1, v8, -v15
	v_mul_f32_e32 v42, 0xbf763a35, v4
	v_fmac_f32_e32 v6, 0x3f3d2fb0, v8
	v_dual_fmamk_f32 v46, v10, 0xbe8c1d8e, v44 :: v_dual_add_f32 v53, v35, v53
	v_fma_f32 v44, 0xbe8c1d8e, v10, -v44
	v_add_f32_e32 v33, v34, v33
	v_fma_f32 v43, 0xbe8c1d8e, v8, -v42
	s_delay_alu instid0(VALU_DEP_4) | instskip(NEXT) | instid1(VALU_DEP_4)
	v_dual_add_f32 v46, v35, v46 :: v_dual_mul_f32 v7, 0xbe3c28d5, v7
	v_add_f32_e32 v44, v35, v44
	v_mul_f32_e32 v4, 0xbe3c28d5, v4
	v_mul_f32_e32 v58, 0xbf2c7751, v55
	v_dual_add_f32 v6, v34, v6 :: v_dual_fmac_f32 v15, 0x3ee437d1, v8
	v_dual_add_f32 v43, v34, v43 :: v_dual_fmac_f32 v42, 0xbe8c1d8e, v8
	v_add_f32_e32 v47, v34, v47
	v_fma_f32 v51, 0xbf59a7d5, v10, -v51
	v_fma_f32 v54, 0xbf7ba420, v8, -v4
	v_fmamk_f32 v56, v10, 0xbf7ba420, v7
	v_fma_f32 v7, 0xbf7ba420, v10, -v7
	v_fma_f32 v10, 0x3f3d2fb0, v57, -v58
	v_mul_f32_e32 v124, 0xbf2c7751, v59
	v_fmac_f32_e32 v58, 0x3f3d2fb0, v57
	v_fmac_f32_e32 v4, 0xbf7ba420, v8
	v_add_f32_e32 v8, v246, v177
	v_dual_add_f32 v32, v35, v32 :: v_dual_add_f32 v15, v34, v15
	v_dual_add_f32 v42, v34, v42 :: v_dual_add_f32 v51, v35, v51
	;; [unrolled: 1-line block ×3, first 2 shown]
	v_add_f32_e32 v56, v35, v56
	v_add_f32_e32 v10, v10, v12
	v_fmamk_f32 v12, v8, 0x3f3d2fb0, v124
	v_fma_f32 v35, 0x3f3d2fb0, v8, -v124
	v_mul_f32_e32 v124, 0xbf7ee86f, v59
	v_add_f32_e32 v54, v34, v54
	v_dual_add_f32 v9, v58, v9 :: v_dual_mul_f32 v58, 0xbf4c4adb, v55
	s_delay_alu instid0(VALU_DEP_4) | instskip(NEXT) | instid1(VALU_DEP_4)
	v_add_f32_e32 v11, v35, v11
	v_dual_fmamk_f32 v35, v8, 0x3dbcf732, v124 :: v_dual_add_f32 v4, v34, v4
	s_delay_alu instid0(VALU_DEP_1) | instskip(NEXT) | instid1(VALU_DEP_4)
	v_add_f32_e32 v32, v35, v32
	v_fma_f32 v35, 0xbf1a4643, v57, -v58
	v_fmac_f32_e32 v58, 0xbf1a4643, v57
	s_delay_alu instid0(VALU_DEP_2) | instskip(NEXT) | instid1(VALU_DEP_2)
	v_add_f32_e32 v33, v35, v33
	v_add_f32_e32 v15, v58, v15
	v_dual_add_f32 v50, v34, v50 :: v_dual_add_f32 v5, v12, v5
	v_mul_f32_e32 v34, 0xbf7ee86f, v55
	v_fma_f32 v58, 0xbf7ba420, v8, -v125
	s_delay_alu instid0(VALU_DEP_2) | instskip(SKIP_1) | instid1(VALU_DEP_2)
	v_fma_f32 v12, 0x3dbcf732, v57, -v34
	v_fmac_f32_e32 v34, 0x3dbcf732, v57
	v_add_f32_e32 v12, v12, v13
	v_fma_f32 v13, 0x3dbcf732, v8, -v124
	v_mul_f32_e32 v124, 0xbf4c4adb, v59
	s_delay_alu instid0(VALU_DEP_4) | instskip(NEXT) | instid1(VALU_DEP_3)
	v_add_f32_e32 v6, v34, v6
	v_dual_add_f32 v13, v13, v14 :: v_dual_mul_f32 v14, 0xbe3c28d5, v55
	s_delay_alu instid0(VALU_DEP_3) | instskip(SKIP_1) | instid1(VALU_DEP_3)
	v_fmamk_f32 v34, v8, 0xbf1a4643, v124
	v_fma_f32 v35, 0xbf1a4643, v8, -v124
	v_fma_f32 v124, 0xbf7ba420, v57, -v14
	s_delay_alu instid0(VALU_DEP_2) | instskip(SKIP_1) | instid1(VALU_DEP_3)
	v_dual_add_f32 v34, v34, v37 :: v_dual_add_f32 v35, v35, v36
	v_dual_fmamk_f32 v37, v8, 0xbf7ba420, v125 :: v_dual_fmac_f32 v14, 0xbf7ba420, v57
	v_add_f32_e32 v36, v124, v40
	v_mul_f32_e32 v40, 0x3f06c442, v55
	s_delay_alu instid0(VALU_DEP_3) | instskip(SKIP_1) | instid1(VALU_DEP_3)
	v_dual_mul_f32 v124, 0x3f06c442, v59 :: v_dual_add_f32 v37, v37, v41
	v_mul_f32_e32 v125, 0x3f65296c, v59
	v_fma_f32 v41, 0xbf59a7d5, v57, -v40
	s_delay_alu instid0(VALU_DEP_1) | instskip(NEXT) | instid1(VALU_DEP_4)
	v_dual_fmac_f32 v40, 0xbf59a7d5, v57 :: v_dual_add_f32 v41, v41, v43
	v_fma_f32 v43, 0xbf59a7d5, v8, -v124
	s_delay_alu instid0(VALU_DEP_2) | instskip(NEXT) | instid1(VALU_DEP_2)
	v_add_f32_e32 v40, v40, v42
	v_dual_add_f32 v42, v43, v44 :: v_dual_mul_f32 v43, 0x3f65296c, v55
	v_add_f32_e32 v14, v14, v38
	v_dual_add_f32 v38, v58, v39 :: v_dual_fmamk_f32 v39, v8, 0xbf59a7d5, v124
	v_mul_f32_e32 v58, 0x3f763a35, v55
	s_delay_alu instid0(VALU_DEP_2) | instskip(NEXT) | instid1(VALU_DEP_2)
	v_dual_mul_f32 v124, 0x3f763a35, v59 :: v_dual_add_f32 v39, v39, v46
	v_fma_f32 v46, 0xbe8c1d8e, v57, -v58
	v_fmac_f32_e32 v58, 0xbe8c1d8e, v57
	s_delay_alu instid0(VALU_DEP_2) | instskip(NEXT) | instid1(VALU_DEP_4)
	v_add_f32_e32 v44, v46, v47
	v_fmamk_f32 v46, v8, 0xbe8c1d8e, v124
	v_fma_f32 v47, 0xbe8c1d8e, v8, -v124
	v_fma_f32 v124, 0x3ee437d1, v57, -v43
	v_add_f32_e32 v45, v58, v45
	v_fmac_f32_e32 v43, 0x3ee437d1, v57
	v_fma_f32 v58, 0x3ee437d1, v8, -v125
	v_add_f32_e32 v47, v47, v48
	v_add_f32_e32 v48, v124, v52
	v_mul_f32_e32 v52, 0x3eb8f4ab, v55
	v_mul_f32_e32 v55, 0x3eb8f4ab, v59
	v_dual_add_f32 v43, v43, v50 :: v_dual_add_f32 v50, v58, v51
	v_dual_sub_f32 v51, v245, v182 :: v_dual_add_f32 v46, v46, v49
	v_fmamk_f32 v49, v8, 0x3ee437d1, v125
	s_delay_alu instid0(VALU_DEP_4) | instskip(SKIP_2) | instid1(VALU_DEP_4)
	v_fmamk_f32 v59, v8, 0x3f6eb680, v55
	v_fma_f32 v8, 0x3f6eb680, v8, -v55
	v_add_f32_e32 v55, v245, v182
	v_add_f32_e32 v49, v49, v53
	v_fma_f32 v53, 0x3f6eb680, v57, -v52
	s_delay_alu instid0(VALU_DEP_4) | instskip(NEXT) | instid1(VALU_DEP_2)
	v_add_f32_e32 v7, v8, v7
	v_dual_mul_f32 v8, 0xbf4c4adb, v51 :: v_dual_add_f32 v53, v53, v54
	v_add_f32_e32 v54, v59, v56
	v_add_f32_e32 v56, v186, v174
	v_dual_sub_f32 v58, v186, v174 :: v_dual_mul_f32 v59, 0xbf65296c, v51
	v_fmac_f32_e32 v52, 0x3f6eb680, v57
	s_delay_alu instid0(VALU_DEP_2) | instskip(NEXT) | instid1(VALU_DEP_3)
	v_mul_f32_e32 v57, 0xbf65296c, v58
	v_fma_f32 v124, 0x3ee437d1, v56, -v59
	s_delay_alu instid0(VALU_DEP_3) | instskip(SKIP_1) | instid1(VALU_DEP_4)
	v_add_f32_e32 v4, v52, v4
	v_fmac_f32_e32 v59, 0x3ee437d1, v56
	v_fmamk_f32 v52, v55, 0x3ee437d1, v57
	s_delay_alu instid0(VALU_DEP_4) | instskip(SKIP_1) | instid1(VALU_DEP_4)
	v_add_f32_e32 v10, v124, v10
	v_fma_f32 v124, 0xbf1a4643, v56, -v8
	v_dual_add_f32 v9, v59, v9 :: v_dual_fmac_f32 v8, 0xbf1a4643, v56
	s_delay_alu instid0(VALU_DEP_4) | instskip(NEXT) | instid1(VALU_DEP_3)
	v_dual_add_f32 v5, v52, v5 :: v_dual_mul_f32 v52, 0xbf4c4adb, v58
	v_add_f32_e32 v12, v124, v12
	v_mul_f32_e32 v124, 0x3e3c28d5, v58
	v_fma_f32 v57, 0x3ee437d1, v55, -v57
	s_delay_alu instid0(VALU_DEP_4) | instskip(SKIP_1) | instid1(VALU_DEP_3)
	v_dual_add_f32 v6, v8, v6 :: v_dual_fmamk_f32 v59, v55, 0xbf1a4643, v52
	v_fma_f32 v52, 0xbf1a4643, v55, -v52
	v_add_f32_e32 v11, v57, v11
	s_delay_alu instid0(VALU_DEP_3) | instskip(NEXT) | instid1(VALU_DEP_3)
	v_dual_mul_f32 v57, 0x3e3c28d5, v51 :: v_dual_add_f32 v32, v59, v32
	v_dual_add_f32 v8, v52, v13 :: v_dual_fmamk_f32 v13, v55, 0xbf7ba420, v124
	v_fma_f32 v59, 0xbf7ba420, v55, -v124
	s_delay_alu instid0(VALU_DEP_2) | instskip(NEXT) | instid1(VALU_DEP_2)
	v_dual_mul_f32 v52, 0x3f763a35, v51 :: v_dual_add_f32 v13, v13, v34
	v_dual_mul_f32 v34, 0x3f763a35, v58 :: v_dual_add_f32 v35, v59, v35
	s_delay_alu instid0(VALU_DEP_1)
	v_fmamk_f32 v59, v55, 0xbe8c1d8e, v34
	v_fma_f32 v125, 0xbf7ba420, v56, -v57
	v_fmac_f32_e32 v57, 0xbf7ba420, v56
	v_fma_f32 v124, 0xbe8c1d8e, v56, -v52
	v_fmac_f32_e32 v52, 0xbe8c1d8e, v56
	v_fma_f32 v34, 0xbe8c1d8e, v55, -v34
	v_add_f32_e32 v37, v59, v37
	v_add_f32_e32 v15, v57, v15
	v_dual_mul_f32 v57, 0x3f2c7751, v51 :: v_dual_add_f32 v36, v124, v36
	v_mul_f32_e32 v59, 0x3f2c7751, v58
	v_dual_add_f32 v34, v34, v38 :: v_dual_add_f32 v33, v125, v33
	s_delay_alu instid0(VALU_DEP_3) | instskip(NEXT) | instid1(VALU_DEP_1)
	v_fma_f32 v124, 0x3f3d2fb0, v56, -v57
	v_dual_fmac_f32 v57, 0x3f3d2fb0, v56 :: v_dual_add_f32 v38, v124, v41
	v_mul_f32_e32 v124, 0xbeb8f4ab, v58
	s_delay_alu instid0(VALU_DEP_2) | instskip(SKIP_4) | instid1(VALU_DEP_3)
	v_dual_add_f32 v40, v57, v40 :: v_dual_mul_f32 v57, 0xbf7ee86f, v51
	v_add_f32_e32 v14, v52, v14
	v_fmamk_f32 v52, v55, 0x3f3d2fb0, v59
	v_mul_f32_e32 v41, 0xbeb8f4ab, v51
	v_fma_f32 v59, 0x3f3d2fb0, v55, -v59
	v_dual_add_f32 v39, v52, v39 :: v_dual_fmamk_f32 v52, v55, 0x3f6eb680, v124
	s_delay_alu instid0(VALU_DEP_3) | instskip(NEXT) | instid1(VALU_DEP_3)
	v_fma_f32 v125, 0x3f6eb680, v56, -v41
	v_dual_add_f32 v42, v59, v42 :: v_dual_fmac_f32 v41, 0x3f6eb680, v56
	v_fma_f32 v59, 0x3f6eb680, v55, -v124
	s_delay_alu instid0(VALU_DEP_4)
	v_add_f32_e32 v46, v52, v46
	v_mul_f32_e32 v52, 0xbf7ee86f, v58
	v_fma_f32 v124, 0x3dbcf732, v56, -v57
	v_add_f32_e32 v41, v41, v45
	v_add_f32_e32 v45, v59, v47
	v_mul_f32_e32 v47, 0xbf06c442, v51
	v_fmamk_f32 v51, v55, 0x3dbcf732, v52
	v_fmac_f32_e32 v57, 0x3dbcf732, v56
	v_fma_f32 v52, 0x3dbcf732, v55, -v52
	s_delay_alu instid0(VALU_DEP_4) | instskip(NEXT) | instid1(VALU_DEP_4)
	v_fma_f32 v59, 0xbf59a7d5, v56, -v47
	v_add_f32_e32 v49, v51, v49
	v_mul_f32_e32 v51, 0xbf06c442, v58
	s_delay_alu instid0(VALU_DEP_4) | instskip(SKIP_1) | instid1(VALU_DEP_3)
	v_dual_add_f32 v43, v57, v43 :: v_dual_add_f32 v50, v52, v50
	v_fmac_f32_e32 v47, 0xbf59a7d5, v56
	v_fmamk_f32 v57, v55, 0xbf59a7d5, v51
	v_fma_f32 v51, 0xbf59a7d5, v55, -v51
	v_add_f32_e32 v55, v244, v181
	v_sub_f32_e32 v56, v180, v173
	v_add_f32_e32 v58, v180, v173
	v_add_f32_e32 v52, v59, v53
	v_dual_sub_f32 v53, v244, v181 :: v_dual_add_f32 v54, v57, v54
	v_add_f32_e32 v4, v47, v4
	v_add_f32_e32 v7, v51, v7
	s_delay_alu instid0(VALU_DEP_3) | instskip(SKIP_2) | instid1(VALU_DEP_3)
	v_dual_mul_f32 v59, 0xbf7ee86f, v53 :: v_dual_add_f32 v48, v124, v48
	v_mul_f32_e32 v124, 0xbf7ee86f, v56
	v_dual_add_f32 v44, v125, v44 :: v_dual_mul_f32 v51, 0xbe3c28d5, v53
	v_fma_f32 v57, 0x3dbcf732, v58, -v59
	s_delay_alu instid0(VALU_DEP_1) | instskip(SKIP_1) | instid1(VALU_DEP_2)
	v_dual_fmamk_f32 v47, v55, 0x3dbcf732, v124 :: v_dual_add_f32 v10, v57, v10
	v_fma_f32 v57, 0x3dbcf732, v55, -v124
	v_add_f32_e32 v5, v47, v5
	v_fma_f32 v47, 0xbf7ba420, v58, -v51
	s_delay_alu instid0(VALU_DEP_3) | instskip(NEXT) | instid1(VALU_DEP_2)
	v_dual_mul_f32 v124, 0xbe3c28d5, v56 :: v_dual_add_f32 v11, v57, v11
	v_dual_mul_f32 v57, 0x3f763a35, v53 :: v_dual_add_f32 v12, v47, v12
	s_delay_alu instid0(VALU_DEP_2) | instskip(SKIP_2) | instid1(VALU_DEP_3)
	v_fmamk_f32 v47, v55, 0xbf7ba420, v124
	v_mul_f32_e32 v125, 0x3f763a35, v56
	v_fmac_f32_e32 v59, 0x3dbcf732, v58
	v_dual_fmac_f32 v51, 0xbf7ba420, v58 :: v_dual_add_f32 v32, v47, v32
	s_delay_alu instid0(VALU_DEP_3) | instskip(NEXT) | instid1(VALU_DEP_3)
	v_fmamk_f32 v47, v55, 0xbe8c1d8e, v125
	v_add_f32_e32 v9, v59, v9
	v_fma_f32 v59, 0xbf7ba420, v55, -v124
	v_fma_f32 v124, 0xbe8c1d8e, v58, -v57
	v_dual_add_f32 v6, v51, v6 :: v_dual_mul_f32 v51, 0x3eb8f4ab, v53
	s_delay_alu instid0(VALU_DEP_3) | instskip(NEXT) | instid1(VALU_DEP_3)
	v_dual_fmac_f32 v57, 0xbe8c1d8e, v58 :: v_dual_add_f32 v8, v59, v8
	v_add_f32_e32 v33, v124, v33
	v_fma_f32 v59, 0xbe8c1d8e, v55, -v125
	v_dual_mul_f32 v124, 0x3eb8f4ab, v56 :: v_dual_add_f32 v13, v47, v13
	v_fma_f32 v47, 0x3f6eb680, v58, -v51
	v_add_f32_e32 v15, v57, v15
	s_delay_alu instid0(VALU_DEP_4) | instskip(NEXT) | instid1(VALU_DEP_4)
	v_add_f32_e32 v35, v59, v35
	v_fmamk_f32 v57, v55, 0x3f6eb680, v124
	s_delay_alu instid0(VALU_DEP_4) | instskip(SKIP_2) | instid1(VALU_DEP_4)
	v_dual_mul_f32 v59, 0xbf65296c, v53 :: v_dual_add_f32 v36, v47, v36
	v_fmac_f32_e32 v51, 0x3f6eb680, v58
	v_fma_f32 v47, 0x3f6eb680, v55, -v124
	v_add_f32_e32 v37, v57, v37
	s_delay_alu instid0(VALU_DEP_4) | instskip(SKIP_4) | instid1(VALU_DEP_3)
	v_fma_f32 v57, 0x3ee437d1, v58, -v59
	v_fmac_f32_e32 v59, 0x3ee437d1, v58
	v_mul_f32_e32 v124, 0xbf65296c, v56
	v_dual_add_f32 v14, v51, v14 :: v_dual_mul_f32 v125, 0xbf06c442, v56
	v_dual_add_f32 v34, v47, v34 :: v_dual_mul_f32 v47, 0xbf06c442, v53
	v_dual_add_f32 v38, v57, v38 :: v_dual_fmamk_f32 v51, v55, 0x3ee437d1, v124
	v_fma_f32 v57, 0x3ee437d1, v55, -v124
	v_add_f32_e32 v40, v59, v40
	s_delay_alu instid0(VALU_DEP_4) | instskip(SKIP_1) | instid1(VALU_DEP_4)
	v_fma_f32 v124, 0xbf59a7d5, v58, -v47
	v_fmac_f32_e32 v47, 0xbf59a7d5, v58
	v_dual_add_f32 v39, v51, v39 :: v_dual_add_f32 v42, v57, v42
	v_fmamk_f32 v51, v55, 0xbf59a7d5, v125
	v_mul_f32_e32 v57, 0x3f4c4adb, v53
	v_mul_f32_e32 v59, 0x3f4c4adb, v56
	v_add_f32_e32 v44, v124, v44
	v_fma_f32 v124, 0xbf59a7d5, v55, -v125
	v_add_f32_e32 v46, v51, v46
	v_fma_f32 v51, 0xbf1a4643, v58, -v57
	v_add_f32_e32 v41, v47, v41
	v_fmamk_f32 v47, v55, 0xbf1a4643, v59
	v_dual_mul_f32 v53, 0x3f2c7751, v53 :: v_dual_mul_f32 v56, 0x3f2c7751, v56
	s_delay_alu instid0(VALU_DEP_4) | instskip(NEXT) | instid1(VALU_DEP_3)
	v_dual_add_f32 v45, v124, v45 :: v_dual_add_f32 v48, v51, v48
	v_dual_add_f32 v47, v47, v49 :: v_dual_sub_f32 v124, v176, v171
	v_fma_f32 v49, 0xbf1a4643, v55, -v59
	s_delay_alu instid0(VALU_DEP_4) | instskip(SKIP_3) | instid1(VALU_DEP_4)
	v_fma_f32 v51, 0x3f3d2fb0, v58, -v53
	v_fmac_f32_e32 v57, 0xbf1a4643, v58
	v_fmac_f32_e32 v53, 0x3f3d2fb0, v58
	v_mul_f32_e32 v125, 0xbf763a35, v124
	v_dual_add_f32 v49, v49, v50 :: v_dual_add_f32 v50, v51, v52
	s_delay_alu instid0(VALU_DEP_4) | instskip(NEXT) | instid1(VALU_DEP_4)
	v_add_f32_e32 v43, v57, v43
	v_dual_sub_f32 v57, v243, v185 :: v_dual_add_f32 v4, v53, v4
	s_delay_alu instid0(VALU_DEP_1) | instskip(NEXT) | instid1(VALU_DEP_1)
	v_dual_add_f32 v52, v176, v171 :: v_dual_mul_f32 v59, 0xbf763a35, v57
	v_fma_f32 v58, 0xbe8c1d8e, v52, -v59
	v_fmamk_f32 v51, v55, 0x3f3d2fb0, v56
	v_fma_f32 v55, 0x3f3d2fb0, v55, -v56
	v_add_f32_e32 v56, v243, v185
	s_delay_alu instid0(VALU_DEP_4) | instskip(NEXT) | instid1(VALU_DEP_4)
	v_add_f32_e32 v10, v58, v10
	v_dual_add_f32 v51, v51, v54 :: v_dual_mul_f32 v58, 0x3f06c442, v124
	s_delay_alu instid0(VALU_DEP_3) | instskip(SKIP_1) | instid1(VALU_DEP_2)
	v_fmamk_f32 v53, v56, 0xbe8c1d8e, v125
	v_dual_mul_f32 v54, 0x3f06c442, v57 :: v_dual_add_f32 v7, v55, v7
	v_add_f32_e32 v5, v53, v5
	s_delay_alu instid0(VALU_DEP_2) | instskip(SKIP_1) | instid1(VALU_DEP_2)
	v_fma_f32 v53, 0xbf59a7d5, v52, -v54
	v_fmac_f32_e32 v54, 0xbf59a7d5, v52
	v_add_f32_e32 v12, v53, v12
	s_delay_alu instid0(VALU_DEP_2) | instskip(SKIP_3) | instid1(VALU_DEP_4)
	v_dual_fmac_f32 v59, 0xbe8c1d8e, v52 :: v_dual_add_f32 v6, v54, v6
	v_fma_f32 v55, 0xbe8c1d8e, v56, -v125
	v_fma_f32 v53, 0xbf59a7d5, v56, -v58
	v_mul_f32_e32 v125, 0xbf65296c, v124
	v_add_f32_e32 v9, v59, v9
	v_mul_f32_e32 v59, 0x3f2c7751, v57
	v_add_f32_e32 v11, v55, v11
	v_fmamk_f32 v55, v56, 0xbf59a7d5, v58
	v_mul_f32_e32 v58, 0x3f2c7751, v124
	v_add_f32_e32 v8, v53, v8
	s_delay_alu instid0(VALU_DEP_3) | instskip(SKIP_1) | instid1(VALU_DEP_1)
	v_add_f32_e32 v32, v55, v32
	v_fma_f32 v55, 0x3f3d2fb0, v52, -v59
	v_dual_fmamk_f32 v54, v56, 0x3f3d2fb0, v58 :: v_dual_add_f32 v33, v55, v33
	v_fma_f32 v55, 0x3f3d2fb0, v56, -v58
	s_delay_alu instid0(VALU_DEP_2) | instskip(NEXT) | instid1(VALU_DEP_2)
	v_dual_add_f32 v13, v54, v13 :: v_dual_fmamk_f32 v54, v56, 0x3ee437d1, v125
	v_add_f32_e32 v35, v55, v35
	v_mul_f32_e32 v55, 0xbe3c28d5, v57
	s_delay_alu instid0(VALU_DEP_3) | instskip(NEXT) | instid1(VALU_DEP_2)
	v_add_f32_e32 v37, v54, v37
	v_fma_f32 v54, 0xbf7ba420, v52, -v55
	v_fmac_f32_e32 v55, 0xbf7ba420, v52
	s_delay_alu instid0(VALU_DEP_2) | instskip(NEXT) | instid1(VALU_DEP_2)
	v_dual_mul_f32 v53, 0xbf65296c, v57 :: v_dual_add_f32 v38, v54, v38
	v_add_f32_e32 v40, v55, v40
	v_fmac_f32_e32 v59, 0x3f3d2fb0, v52
	s_delay_alu instid0(VALU_DEP_3) | instskip(SKIP_1) | instid1(VALU_DEP_2)
	v_fma_f32 v58, 0x3ee437d1, v52, -v53
	v_fmac_f32_e32 v53, 0x3ee437d1, v52
	v_dual_add_f32 v15, v59, v15 :: v_dual_add_f32 v36, v58, v36
	v_fma_f32 v58, 0x3ee437d1, v56, -v125
	s_delay_alu instid0(VALU_DEP_3) | instskip(NEXT) | instid1(VALU_DEP_2)
	v_dual_mul_f32 v59, 0xbe3c28d5, v124 :: v_dual_add_f32 v14, v53, v14
	v_dual_mul_f32 v125, 0xbeb8f4ab, v124 :: v_dual_add_f32 v34, v58, v34
	s_delay_alu instid0(VALU_DEP_2) | instskip(SKIP_2) | instid1(VALU_DEP_1)
	v_fmamk_f32 v53, v56, 0xbf7ba420, v59
	v_mul_f32_e32 v58, 0x3f7ee86f, v57
	v_fma_f32 v54, 0xbf7ba420, v56, -v59
	v_dual_mul_f32 v59, 0x3f7ee86f, v124 :: v_dual_add_f32 v42, v54, v42
	s_delay_alu instid0(VALU_DEP_4) | instskip(NEXT) | instid1(VALU_DEP_4)
	v_dual_mul_f32 v54, 0xbeb8f4ab, v57 :: v_dual_add_f32 v39, v53, v39
	v_fma_f32 v53, 0x3dbcf732, v52, -v58
	s_delay_alu instid0(VALU_DEP_3) | instskip(SKIP_1) | instid1(VALU_DEP_3)
	v_fma_f32 v55, 0x3dbcf732, v56, -v59
	v_fmac_f32_e32 v58, 0x3dbcf732, v52
	v_dual_add_f32 v44, v53, v44 :: v_dual_fmamk_f32 v53, v56, 0x3dbcf732, v59
	v_fma_f32 v59, 0x3f6eb680, v52, -v54
	v_fmac_f32_e32 v54, 0x3f6eb680, v52
	s_delay_alu instid0(VALU_DEP_3) | instskip(NEXT) | instid1(VALU_DEP_2)
	v_dual_add_f32 v46, v53, v46 :: v_dual_fmamk_f32 v53, v56, 0x3f6eb680, v125
	v_add_f32_e32 v43, v54, v43
	v_dual_sub_f32 v54, v242, v184 :: v_dual_add_f32 v45, v55, v45
	v_mul_f32_e32 v55, 0xbf4c4adb, v57
	v_mul_f32_e32 v57, 0xbf4c4adb, v124
	v_dual_add_f32 v48, v59, v48 :: v_dual_add_f32 v47, v53, v47
	s_delay_alu instid0(VALU_DEP_3) | instskip(NEXT) | instid1(VALU_DEP_3)
	v_fma_f32 v53, 0xbf1a4643, v52, -v55
	v_fmamk_f32 v59, v56, 0xbf1a4643, v57
	v_fmac_f32_e32 v55, 0xbf1a4643, v52
	v_add_f32_e32 v41, v58, v41
	v_fma_f32 v58, 0x3f6eb680, v56, -v125
	s_delay_alu instid0(VALU_DEP_4) | instskip(SKIP_2) | instid1(VALU_DEP_4)
	v_dual_add_f32 v50, v53, v50 :: v_dual_add_f32 v51, v59, v51
	v_add_f32_e32 v53, v172, v170
	v_mul_f32_e32 v59, 0xbf4c4adb, v54
	v_dual_add_f32 v49, v58, v49 :: v_dual_sub_f32 v58, v172, v170
	v_fma_f32 v52, 0xbf1a4643, v56, -v57
	v_add_f32_e32 v56, v242, v184
	s_delay_alu instid0(VALU_DEP_4) | instskip(NEXT) | instid1(VALU_DEP_4)
	v_fma_f32 v124, 0xbf1a4643, v53, -v59
	v_dual_add_f32 v4, v55, v4 :: v_dual_mul_f32 v57, 0xbf4c4adb, v58
	s_delay_alu instid0(VALU_DEP_4) | instskip(NEXT) | instid1(VALU_DEP_3)
	v_dual_add_f32 v7, v52, v7 :: v_dual_mul_f32 v52, 0x3f763a35, v54
	v_dual_add_f32 v10, v124, v10 :: v_dual_fmac_f32 v59, 0xbf1a4643, v53
	s_delay_alu instid0(VALU_DEP_3) | instskip(SKIP_1) | instid1(VALU_DEP_4)
	v_fmamk_f32 v55, v56, 0xbf1a4643, v57
	v_fma_f32 v57, 0xbf1a4643, v56, -v57
	v_fma_f32 v124, 0xbe8c1d8e, v53, -v52
	v_fmac_f32_e32 v52, 0xbe8c1d8e, v53
	v_add_f32_e32 v9, v59, v9
	v_add_f32_e32 v5, v55, v5
	s_delay_alu instid0(VALU_DEP_4) | instskip(SKIP_2) | instid1(VALU_DEP_3)
	v_dual_mul_f32 v55, 0x3f763a35, v58 :: v_dual_add_f32 v12, v124, v12
	v_mul_f32_e32 v124, 0xbeb8f4ab, v58
	v_add_f32_e32 v6, v52, v6
	v_fmamk_f32 v59, v56, 0xbe8c1d8e, v55
	v_fma_f32 v55, 0xbe8c1d8e, v56, -v55
	s_delay_alu instid0(VALU_DEP_4) | instskip(NEXT) | instid1(VALU_DEP_3)
	v_fmamk_f32 v52, v56, 0x3f6eb680, v124
	v_add_f32_e32 v32, v59, v32
	v_fma_f32 v59, 0x3f6eb680, v56, -v124
	s_delay_alu instid0(VALU_DEP_3) | instskip(SKIP_1) | instid1(VALU_DEP_3)
	v_dual_add_f32 v13, v52, v13 :: v_dual_mul_f32 v52, 0xbf06c442, v58
	v_dual_add_f32 v8, v55, v8 :: v_dual_mul_f32 v55, 0xbf06c442, v54
	v_add_f32_e32 v35, v59, v35
	s_delay_alu instid0(VALU_DEP_3) | instskip(SKIP_1) | instid1(VALU_DEP_4)
	v_fmamk_f32 v59, v56, 0xbf59a7d5, v52
	v_fma_f32 v52, 0xbf59a7d5, v56, -v52
	v_fma_f32 v124, 0xbf59a7d5, v53, -v55
	s_delay_alu instid0(VALU_DEP_2) | instskip(SKIP_1) | instid1(VALU_DEP_3)
	v_dual_add_f32 v37, v59, v37 :: v_dual_add_f32 v34, v52, v34
	v_dual_mul_f32 v52, 0xbf2c7751, v54 :: v_dual_add_f32 v11, v57, v11
	v_dual_mul_f32 v57, 0xbeb8f4ab, v54 :: v_dual_add_f32 v36, v124, v36
	v_mul_f32_e32 v59, 0x3f7ee86f, v58
	s_delay_alu instid0(VALU_DEP_2) | instskip(SKIP_1) | instid1(VALU_DEP_1)
	v_fma_f32 v125, 0x3f6eb680, v53, -v57
	v_fmac_f32_e32 v57, 0x3f6eb680, v53
	v_add_f32_e32 v15, v57, v15
	v_mul_f32_e32 v57, 0x3f7ee86f, v54
	s_delay_alu instid0(VALU_DEP_1) | instskip(NEXT) | instid1(VALU_DEP_1)
	v_fma_f32 v124, 0x3dbcf732, v53, -v57
	v_dual_fmac_f32 v57, 0x3dbcf732, v53 :: v_dual_add_f32 v38, v124, v38
	s_delay_alu instid0(VALU_DEP_1) | instskip(SKIP_2) | instid1(VALU_DEP_3)
	v_dual_add_f32 v40, v57, v40 :: v_dual_fmac_f32 v55, 0xbf59a7d5, v53
	v_mul_f32_e32 v124, 0xbf2c7751, v58
	v_mul_f32_e32 v57, 0xbe3c28d5, v54
	v_dual_add_f32 v14, v55, v14 :: v_dual_fmamk_f32 v55, v56, 0x3dbcf732, v59
	v_fma_f32 v59, 0x3dbcf732, v56, -v59
	s_delay_alu instid0(VALU_DEP_2) | instskip(NEXT) | instid1(VALU_DEP_2)
	v_add_f32_e32 v39, v55, v39
	v_dual_fmamk_f32 v55, v56, 0x3f3d2fb0, v124 :: v_dual_add_f32 v42, v59, v42
	v_fma_f32 v59, 0x3f3d2fb0, v56, -v124
	v_fma_f32 v124, 0xbf7ba420, v53, -v57
	s_delay_alu instid0(VALU_DEP_3) | instskip(SKIP_3) | instid1(VALU_DEP_4)
	v_dual_fmac_f32 v57, 0xbf7ba420, v53 :: v_dual_add_f32 v46, v55, v46
	v_mul_f32_e32 v55, 0xbe3c28d5, v58
	v_add_f32_e32 v33, v125, v33
	v_fma_f32 v125, 0x3f3d2fb0, v53, -v52
	v_dual_fmac_f32 v52, 0x3f3d2fb0, v53 :: v_dual_add_f32 v43, v57, v43
	v_add_f32_e32 v48, v124, v48
	s_delay_alu instid0(VALU_DEP_2) | instskip(SKIP_3) | instid1(VALU_DEP_2)
	v_dual_add_f32 v44, v125, v44 :: v_dual_add_f32 v41, v52, v41
	v_mul_f32_e32 v52, 0x3f65296c, v54
	v_fmamk_f32 v54, v56, 0xbf7ba420, v55
	v_fma_f32 v55, 0xbf7ba420, v56, -v55
	v_dual_add_f32 v47, v54, v47 :: v_dual_mul_f32 v54, 0x3f65296c, v58
	s_delay_alu instid0(VALU_DEP_2) | instskip(SKIP_2) | instid1(VALU_DEP_4)
	v_add_f32_e32 v49, v55, v49
	v_add_f32_e32 v58, v168, v169
	v_sub_f32_e32 v55, v193, v189
	v_fmamk_f32 v57, v56, 0x3ee437d1, v54
	v_fma_f32 v54, 0x3ee437d1, v56, -v54
	v_add_f32_e32 v56, v193, v189
	v_add_f32_e32 v45, v59, v45
	v_fma_f32 v59, 0x3ee437d1, v53, -v52
	v_fmac_f32_e32 v52, 0x3ee437d1, v53
	v_sub_f32_e32 v53, v168, v169
	v_add_f32_e32 v51, v57, v51
	s_delay_alu instid0(VALU_DEP_4) | instskip(NEXT) | instid1(VALU_DEP_3)
	v_dual_add_f32 v7, v54, v7 :: v_dual_add_f32 v50, v59, v50
	v_dual_mul_f32 v59, 0xbf06c442, v55 :: v_dual_mul_f32 v124, 0xbf06c442, v53
	v_add_f32_e32 v4, v52, v4
	v_mul_f32_e32 v54, 0x3f65296c, v55
	v_mul_f32_e32 v125, 0xbf7ee86f, v53
	s_delay_alu instid0(VALU_DEP_4) | instskip(SKIP_1) | instid1(VALU_DEP_2)
	v_fma_f32 v57, 0xbf59a7d5, v58, -v59
	v_dual_fmamk_f32 v52, v56, 0xbf59a7d5, v124 :: v_dual_fmac_f32 v59, 0xbf59a7d5, v58
	v_add_f32_e32 v10, v57, v10
	v_fma_f32 v57, 0xbf59a7d5, v56, -v124
	s_delay_alu instid0(VALU_DEP_3) | instskip(SKIP_2) | instid1(VALU_DEP_4)
	v_add_f32_e32 v5, v52, v5
	v_fma_f32 v52, 0x3ee437d1, v58, -v54
	v_mul_f32_e32 v124, 0x3f65296c, v53
	v_dual_fmac_f32 v54, 0x3ee437d1, v58 :: v_dual_add_f32 v11, v57, v11
	s_delay_alu instid0(VALU_DEP_3) | instskip(NEXT) | instid1(VALU_DEP_3)
	v_dual_add_f32 v9, v59, v9 :: v_dual_add_f32 v12, v52, v12
	v_fmamk_f32 v52, v56, 0x3ee437d1, v124
	s_delay_alu instid0(VALU_DEP_3) | instskip(SKIP_2) | instid1(VALU_DEP_4)
	v_add_f32_e32 v6, v54, v6
	v_mul_f32_e32 v54, 0x3f4c4adb, v55
	v_fma_f32 v59, 0x3ee437d1, v56, -v124
	v_add_f32_e32 v32, v52, v32
	v_fmamk_f32 v52, v56, 0x3dbcf732, v125
	s_delay_alu instid0(VALU_DEP_3) | instskip(SKIP_1) | instid1(VALU_DEP_3)
	v_add_f32_e32 v8, v59, v8
	v_fma_f32 v59, 0x3dbcf732, v56, -v125
	v_add_f32_e32 v13, v52, v13
	v_fma_f32 v52, 0xbf1a4643, v58, -v54
	v_fmac_f32_e32 v54, 0xbf1a4643, v58
	v_mul_f32_e32 v57, 0xbf7ee86f, v55
	v_add_f32_e32 v35, v59, v35
	s_delay_alu instid0(VALU_DEP_4) | instskip(NEXT) | instid1(VALU_DEP_4)
	v_dual_mul_f32 v59, 0xbeb8f4ab, v55 :: v_dual_add_f32 v36, v52, v36
	v_add_f32_e32 v14, v54, v14
	s_delay_alu instid0(VALU_DEP_4) | instskip(SKIP_1) | instid1(VALU_DEP_2)
	v_fma_f32 v124, 0x3dbcf732, v58, -v57
	v_fmac_f32_e32 v57, 0x3dbcf732, v58
	v_add_f32_e32 v33, v124, v33
	v_mul_f32_e32 v124, 0x3f4c4adb, v53
	s_delay_alu instid0(VALU_DEP_1) | instskip(NEXT) | instid1(VALU_DEP_1)
	v_fma_f32 v52, 0xbf1a4643, v56, -v124
	v_add_f32_e32 v34, v52, v34
	v_mul_f32_e32 v52, 0xbe3c28d5, v55
	v_add_f32_e32 v15, v57, v15
	v_fmamk_f32 v57, v56, 0xbf1a4643, v124
	v_mul_f32_e32 v124, 0xbeb8f4ab, v53
	v_mul_f32_e32 v125, 0xbe3c28d5, v53
	s_delay_alu instid0(VALU_DEP_3) | instskip(SKIP_1) | instid1(VALU_DEP_4)
	v_add_f32_e32 v37, v57, v37
	v_fma_f32 v57, 0x3f6eb680, v58, -v59
	v_fmamk_f32 v54, v56, 0x3f6eb680, v124
	s_delay_alu instid0(VALU_DEP_2) | instskip(SKIP_2) | instid1(VALU_DEP_4)
	v_add_f32_e32 v38, v57, v38
	v_fma_f32 v57, 0x3f6eb680, v56, -v124
	v_fma_f32 v124, 0xbf7ba420, v58, -v52
	v_dual_add_f32 v39, v54, v39 :: v_dual_fmamk_f32 v54, v56, 0xbf7ba420, v125
	v_fmac_f32_e32 v52, 0xbf7ba420, v58
	s_delay_alu instid0(VALU_DEP_4) | instskip(NEXT) | instid1(VALU_DEP_4)
	v_dual_add_f32 v42, v57, v42 :: v_dual_mul_f32 v57, 0x3f2c7751, v55
	v_add_f32_e32 v44, v124, v44
	v_mul_f32_e32 v124, 0x3f2c7751, v53
	v_dual_add_f32 v46, v54, v46 :: v_dual_mul_f32 v53, 0xbf763a35, v53
	s_delay_alu instid0(VALU_DEP_4) | instskip(NEXT) | instid1(VALU_DEP_1)
	v_fma_f32 v54, 0x3f3d2fb0, v58, -v57
	v_dual_fmac_f32 v57, 0x3f3d2fb0, v58 :: v_dual_add_f32 v48, v54, v48
	s_delay_alu instid0(VALU_DEP_4) | instskip(NEXT) | instid1(VALU_DEP_2)
	v_fma_f32 v54, 0x3f3d2fb0, v56, -v124
	v_add_f32_e32 v43, v57, v43
	v_add_f32_e32 v57, v140, v141
	s_delay_alu instid0(VALU_DEP_3) | instskip(SKIP_2) | instid1(VALU_DEP_3)
	v_dual_add_f32 v49, v54, v49 :: v_dual_sub_f32 v54, v192, v188
	v_add_f32_e32 v41, v52, v41
	v_fmamk_f32 v52, v56, 0x3f3d2fb0, v124
	v_mul_f32_e32 v124, 0xbe3c28d5, v54
	v_mul_f32_e32 v55, 0xbf763a35, v55
	s_delay_alu instid0(VALU_DEP_3) | instskip(NEXT) | instid1(VALU_DEP_2)
	v_add_f32_e32 v47, v52, v47
	v_fma_f32 v52, 0xbe8c1d8e, v58, -v55
	s_delay_alu instid0(VALU_DEP_1) | instskip(SKIP_3) | instid1(VALU_DEP_3)
	v_add_f32_e32 v50, v52, v50
	v_fmac_f32_e32 v59, 0x3f6eb680, v58
	v_fmamk_f32 v52, v56, 0xbe8c1d8e, v53
	v_fma_f32 v53, 0xbe8c1d8e, v56, -v53
	v_add_f32_e32 v40, v59, v40
	v_fma_f32 v59, 0xbf7ba420, v56, -v125
	v_dual_fmac_f32 v55, 0xbe8c1d8e, v58 :: v_dual_add_f32 v56, v192, v188
	v_add_f32_e32 v51, v52, v51
	v_fma_f32 v125, 0xbf7ba420, v57, -v124
	s_delay_alu instid0(VALU_DEP_4) | instskip(SKIP_2) | instid1(VALU_DEP_4)
	v_add_f32_e32 v45, v59, v45
	v_sub_f32_e32 v59, v140, v141
	v_add_f32_e32 v7, v53, v7
	v_add_f32_e32 v198, v125, v10
	v_mul_f32_e32 v10, 0x3eb8f4ab, v54
	s_delay_alu instid0(VALU_DEP_4) | instskip(NEXT) | instid1(VALU_DEP_1)
	v_mul_f32_e32 v58, 0xbe3c28d5, v59
	v_fmamk_f32 v52, v56, 0xbf7ba420, v58
	v_fma_f32 v53, 0xbf7ba420, v56, -v58
	v_add_f32_e32 v58, v204, v17
	s_delay_alu instid0(VALU_DEP_3) | instskip(SKIP_1) | instid1(VALU_DEP_4)
	v_add_f32_e32 v199, v52, v5
	v_mul_f32_e32 v5, 0x3eb8f4ab, v59
	v_add_f32_e32 v141, v53, v11
	v_fma_f32 v52, 0x3f6eb680, v57, -v10
	s_delay_alu instid0(VALU_DEP_3) | instskip(SKIP_1) | instid1(VALU_DEP_3)
	v_dual_fmac_f32 v10, 0x3f6eb680, v57 :: v_dual_fmamk_f32 v11, v56, 0x3f6eb680, v5
	v_fma_f32 v5, 0x3f6eb680, v56, -v5
	v_add_f32_e32 v192, v52, v12
	s_delay_alu instid0(VALU_DEP_3)
	v_add_f32_e32 v168, v10, v6
	v_sub_f32_e32 v52, v205, v16
	v_add_f32_e32 v193, v11, v32
	v_mul_f32_e32 v11, 0xbf06c442, v59
	v_add_f32_e32 v169, v5, v8
	v_mul_f32_e32 v5, 0x3f2c7751, v54
	s_delay_alu instid0(VALU_DEP_3) | instskip(NEXT) | instid1(VALU_DEP_1)
	v_fma_f32 v8, 0xbf59a7d5, v56, -v11
	v_dual_add_f32 v171, v8, v35 :: v_dual_mul_f32 v8, 0xbf4c4adb, v54
	v_mul_f32_e32 v10, 0x3f2c7751, v59
	v_fmac_f32_e32 v124, 0xbf7ba420, v57
	s_delay_alu instid0(VALU_DEP_1) | instskip(SKIP_1) | instid1(VALU_DEP_2)
	v_dual_add_f32 v140, v124, v9 :: v_dual_mul_f32 v9, 0xbf06c442, v54
	v_add_f32_e32 v124, v216, v241
	v_fma_f32 v12, 0xbf59a7d5, v57, -v9
	v_fmac_f32_e32 v9, 0xbf59a7d5, v57
	s_delay_alu instid0(VALU_DEP_2) | instskip(SKIP_2) | instid1(VALU_DEP_4)
	v_add_f32_e32 v194, v12, v33
	v_sub_f32_e32 v12, v238, v2
	v_fmamk_f32 v6, v56, 0xbf59a7d5, v11
	v_add_f32_e32 v170, v9, v15
	v_fma_f32 v9, 0x3f3d2fb0, v56, -v10
	v_fma_f32 v11, 0x3f3d2fb0, v57, -v5
	s_delay_alu instid0(VALU_DEP_4) | instskip(NEXT) | instid1(VALU_DEP_3)
	v_dual_add_f32 v195, v6, v13 :: v_dual_fmamk_f32 v6, v56, 0x3f3d2fb0, v10
	v_add_f32_e32 v173, v9, v34
	s_delay_alu instid0(VALU_DEP_3) | instskip(SKIP_1) | instid1(VALU_DEP_4)
	v_dual_add_f32 v13, v237, v230 :: v_dual_add_f32 v188, v11, v36
	v_fma_f32 v10, 0xbf1a4643, v57, -v8
	v_dual_add_f32 v189, v6, v37 :: v_dual_mul_f32 v6, 0xbf4c4adb, v59
	v_fmac_f32_e32 v8, 0xbf1a4643, v57
	s_delay_alu instid0(VALU_DEP_2) | instskip(SKIP_1) | instid1(VALU_DEP_3)
	v_dual_add_f32 v190, v10, v38 :: v_dual_fmamk_f32 v9, v56, 0xbf1a4643, v6
	v_fma_f32 v6, 0xbf1a4643, v56, -v6
	v_add_f32_e32 v174, v8, v40
	s_delay_alu instid0(VALU_DEP_2) | instskip(SKIP_1) | instid1(VALU_DEP_1)
	v_dual_add_f32 v4, v55, v4 :: v_dual_add_f32 v175, v6, v42
	v_mul_f32_e32 v6, 0xbf763a35, v54
	v_fma_f32 v11, 0xbe8c1d8e, v57, -v6
	v_fmac_f32_e32 v6, 0xbe8c1d8e, v57
	s_delay_alu instid0(VALU_DEP_2) | instskip(NEXT) | instid1(VALU_DEP_2)
	v_dual_add_f32 v186, v11, v48 :: v_dual_fmac_f32 v5, 0x3f3d2fb0, v57
	v_add_f32_e32 v178, v6, v43
	v_mul_f32_e32 v6, 0xbeb8f4ab, v12
	s_delay_alu instid0(VALU_DEP_3) | instskip(SKIP_4) | instid1(VALU_DEP_4)
	v_add_f32_e32 v172, v5, v14
	v_mul_f32_e32 v5, 0x3f65296c, v54
	v_sub_f32_e32 v14, v237, v230
	v_add_f32_e32 v191, v9, v39
	v_mul_f32_e32 v9, 0x3f65296c, v59
	v_fma_f32 v10, 0x3ee437d1, v57, -v5
	v_fmac_f32_e32 v5, 0x3ee437d1, v57
	s_delay_alu instid0(VALU_DEP_3) | instskip(SKIP_1) | instid1(VALU_DEP_4)
	v_fmamk_f32 v8, v56, 0x3ee437d1, v9
	v_fma_f32 v9, 0x3ee437d1, v56, -v9
	v_add_f32_e32 v184, v10, v44
	v_mul_f32_e32 v10, 0xbf763a35, v59
	s_delay_alu instid0(VALU_DEP_4) | instskip(NEXT) | instid1(VALU_DEP_4)
	v_dual_add_f32 v176, v5, v41 :: v_dual_add_f32 v185, v8, v46
	v_dual_mul_f32 v8, 0x3f7ee86f, v54 :: v_dual_add_f32 v177, v9, v45
	s_delay_alu instid0(VALU_DEP_3) | instskip(SKIP_1) | instid1(VALU_DEP_2)
	v_fmamk_f32 v5, v56, 0xbe8c1d8e, v10
	v_dual_mul_f32 v41, 0xbf2c7751, v12 :: v_dual_mul_f32 v46, 0xbf2c7751, v14
	v_add_f32_e32 v187, v5, v47
	v_fma_f32 v5, 0xbe8c1d8e, v56, -v10
	v_fma_f32 v10, 0x3dbcf732, v57, -v8
	v_dual_fmac_f32 v8, 0x3dbcf732, v57 :: v_dual_sub_f32 v57, v213, v240
	v_add_f32_e32 v223, v21, v19
	s_delay_alu instid0(VALU_DEP_3) | instskip(NEXT) | instid1(VALU_DEP_3)
	v_dual_add_f32 v179, v5, v49 :: v_dual_add_f32 v180, v10, v50
	v_add_f32_e32 v182, v8, v4
	v_mul_f32_e32 v8, 0xbf2c7751, v200
	v_dual_sub_f32 v201, v20, v232 :: v_dual_mul_f32 v4, 0xbeb8f4ab, v14
	s_delay_alu instid0(VALU_DEP_2) | instskip(SKIP_2) | instid1(VALU_DEP_4)
	v_fma_f32 v10, 0x3f3d2fb0, v202, -v8
	v_fmac_f32_e32 v8, 0x3f3d2fb0, v202
	v_mul_f32_e32 v9, 0x3f7ee86f, v59
	v_mul_f32_e32 v47, 0xbf7ee86f, v201
	s_delay_alu instid0(VALU_DEP_2) | instskip(NEXT) | instid1(VALU_DEP_1)
	v_fmamk_f32 v5, v56, 0x3dbcf732, v9
	v_add_f32_e32 v181, v5, v51
	v_fma_f32 v5, 0x3dbcf732, v56, -v9
	v_fma_f32 v9, 0x3f6eb680, v13, -v6
	v_fmac_f32_e32 v6, 0x3f6eb680, v13
	v_dual_sub_f32 v56, v204, v17 :: v_dual_add_f32 v51, v214, v239
	s_delay_alu instid0(VALU_DEP_2) | instskip(NEXT) | instid1(VALU_DEP_2)
	v_dual_add_f32 v53, v213, v240 :: v_dual_add_f32 v6, v128, v6
	v_mul_f32_e32 v33, 0xbf763a35, v56
	v_sub_f32_e32 v125, v212, v221
	s_delay_alu instid0(VALU_DEP_3) | instskip(NEXT) | instid1(VALU_DEP_3)
	v_add_f32_e32 v6, v8, v6
	v_fmamk_f32 v34, v53, 0xbe8c1d8e, v33
	v_add_f32_e32 v183, v5, v7
	v_add_f32_e32 v5, v128, v9
	v_mul_f32_e32 v9, 0xbf2c7751, v201
	v_add_f32_e32 v59, v207, v23
	s_delay_alu instid0(VALU_DEP_2) | instskip(SKIP_2) | instid1(VALU_DEP_1)
	v_fmamk_f32 v11, v203, 0x3f3d2fb0, v9
	v_fma_f32 v9, 0x3f3d2fb0, v203, -v9
	v_add_f32_e32 v15, v238, v2
	v_fmamk_f32 v7, v15, 0x3f6eb680, v4
	v_fma_f32 v4, 0x3f6eb680, v15, -v4
	s_delay_alu instid0(VALU_DEP_2) | instskip(NEXT) | instid1(VALU_DEP_1)
	v_add_f32_e32 v7, v129, v7
	v_dual_add_f32 v4, v129, v4 :: v_dual_add_f32 v7, v11, v7
	v_mul_f32_e32 v11, 0xbf65296c, v224
	s_delay_alu instid0(VALU_DEP_2) | instskip(NEXT) | instid1(VALU_DEP_2)
	v_add_f32_e32 v4, v9, v4
	v_dual_fmamk_f32 v8, v225, 0x3ee437d1, v11 :: v_dual_add_f32 v5, v10, v5
	s_delay_alu instid0(VALU_DEP_1) | instskip(NEXT) | instid1(VALU_DEP_1)
	v_dual_mul_f32 v10, 0xbf65296c, v222 :: v_dual_add_f32 v7, v8, v7
	v_fma_f32 v32, 0x3ee437d1, v223, -v10
	v_fmac_f32_e32 v10, 0x3ee437d1, v223
	s_delay_alu instid0(VALU_DEP_1) | instskip(SKIP_2) | instid1(VALU_DEP_1)
	v_add_f32_e32 v6, v10, v6
	v_mul_f32_e32 v10, 0xbf7ee86f, v127
	v_fma_f32 v8, 0x3ee437d1, v225, -v11
	v_add_f32_e32 v4, v8, v4
	s_delay_alu instid0(VALU_DEP_3) | instskip(NEXT) | instid1(VALU_DEP_1)
	v_fmamk_f32 v8, v226, 0x3dbcf732, v10
	v_dual_fmamk_f32 v48, v203, 0x3dbcf732, v47 :: v_dual_add_f32 v7, v8, v7
	v_fma_f32 v8, 0x3dbcf732, v226, -v10
	v_mul_f32_e32 v9, 0xbf7ee86f, v125
	v_add_f32_e32 v5, v32, v5
	v_mul_f32_e32 v32, 0xbf763a35, v57
	v_add_f32_e32 v34, v34, v7
	v_add_f32_e32 v4, v8, v4
	v_fma_f32 v11, 0x3dbcf732, v126, -v9
	v_fmac_f32_e32 v9, 0x3dbcf732, v126
	v_fma_f32 v8, 0xbe8c1d8e, v53, -v33
	v_dual_mul_f32 v33, 0xbf4c4adb, v52 :: v_dual_sub_f32 v10, v214, v239
	s_delay_alu instid0(VALU_DEP_4)
	v_add_f32_e32 v5, v11, v5
	v_fma_f32 v11, 0xbe8c1d8e, v58, -v32
	v_fmac_f32_e32 v32, 0xbe8c1d8e, v58
	v_add_f32_e32 v6, v9, v6
	v_add_f32_e32 v4, v8, v4
	v_fmamk_f32 v36, v51, 0xbf1a4643, v33
	v_fma_f32 v33, 0xbf1a4643, v51, -v33
	v_add_f32_e32 v5, v11, v5
	v_mul_f32_e32 v35, 0xbf4c4adb, v10
	v_add_f32_e32 v32, v32, v6
	v_dual_add_f32 v6, v215, v197 :: v_dual_add_f32 v11, v205, v16
	v_dual_add_f32 v33, v33, v4 :: v_dual_sub_f32 v4, v207, v23
	v_dual_sub_f32 v7, v215, v197 :: v_dual_add_f32 v8, v206, v231
	s_delay_alu instid0(VALU_DEP_3) | instskip(SKIP_1) | instid1(VALU_DEP_4)
	v_fma_f32 v9, 0xbf1a4643, v11, -v35
	v_add_f32_e32 v34, v36, v34
	v_mul_f32_e32 v40, 0xbe3c28d5, v4
	s_delay_alu instid0(VALU_DEP_4) | instskip(NEXT) | instid1(VALU_DEP_4)
	v_mul_f32_e32 v37, 0xbf06c442, v7
	v_dual_mul_f32 v44, 0x3f65296c, v7 :: v_dual_add_f32 v5, v9, v5
	v_mul_f32_e32 v42, 0x3f06c442, v57
	v_mul_f32_e32 v43, 0x3f763a35, v10
	s_delay_alu instid0(VALU_DEP_4) | instskip(SKIP_3) | instid1(VALU_DEP_2)
	v_fma_f32 v38, 0xbf59a7d5, v8, -v37
	v_fmac_f32_e32 v37, 0xbf59a7d5, v8
	v_dual_sub_f32 v9, v206, v231 :: v_dual_mul_f32 v244, 0xbf06c442, v4
	v_mul_f32_e32 v252, 0xbf4c4adb, v4
	v_mul_f32_e32 v39, 0xbf06c442, v9
	s_delay_alu instid0(VALU_DEP_3) | instskip(NEXT) | instid1(VALU_DEP_3)
	v_fmamk_f32 v246, v124, 0xbf59a7d5, v244
	v_fmamk_f32 v254, v124, 0xbf1a4643, v252
	s_delay_alu instid0(VALU_DEP_3) | instskip(NEXT) | instid1(VALU_DEP_1)
	v_fmamk_f32 v36, v6, 0xbf59a7d5, v39
	v_dual_fmac_f32 v35, 0xbf1a4643, v11 :: v_dual_add_f32 v34, v36, v34
	s_delay_alu instid0(VALU_DEP_1) | instskip(SKIP_2) | instid1(VALU_DEP_2)
	v_dual_add_f32 v32, v35, v32 :: v_dual_add_f32 v35, v38, v5
	v_sub_f32_e32 v5, v216, v241
	v_fma_f32 v38, 0xbf59a7d5, v6, -v39
	v_dual_add_f32 v36, v37, v32 :: v_dual_mul_f32 v39, 0xbe3c28d5, v5
	s_delay_alu instid0(VALU_DEP_2) | instskip(SKIP_2) | instid1(VALU_DEP_4)
	v_add_f32_e32 v37, v38, v33
	v_fmamk_f32 v33, v124, 0xbf7ba420, v40
	v_fma_f32 v40, 0xbf7ba420, v124, -v40
	v_fma_f32 v32, 0xbf7ba420, v59, -v39
	v_fmac_f32_e32 v39, 0xbf7ba420, v59
	s_delay_alu instid0(VALU_DEP_4) | instskip(SKIP_1) | instid1(VALU_DEP_3)
	v_add_f32_e32 v33, v33, v34
	v_fma_f32 v34, 0x3f3d2fb0, v13, -v41
	v_dual_fmac_f32 v41, 0x3f3d2fb0, v13 :: v_dual_add_f32 v38, v39, v36
	v_mul_f32_e32 v36, 0xbf7ee86f, v200
	v_add_f32_e32 v32, v32, v35
	v_add_f32_e32 v39, v40, v37
	;; [unrolled: 1-line block ×3, first 2 shown]
	v_mul_f32_e32 v37, 0xbf4c4adb, v222
	v_fma_f32 v35, 0x3dbcf732, v202, -v36
	v_mul_f32_e32 v40, 0xbe3c28d5, v125
	v_dual_add_f32 v41, v128, v41 :: v_dual_fmac_f32 v36, 0x3dbcf732, v202
	s_delay_alu instid0(VALU_DEP_3) | instskip(SKIP_1) | instid1(VALU_DEP_3)
	v_add_f32_e32 v34, v35, v34
	v_fma_f32 v35, 0xbf1a4643, v223, -v37
	v_add_f32_e32 v36, v36, v41
	s_delay_alu instid0(VALU_DEP_2) | instskip(SKIP_2) | instid1(VALU_DEP_2)
	v_add_f32_e32 v34, v35, v34
	v_fma_f32 v35, 0xbf7ba420, v126, -v40
	v_fmac_f32_e32 v40, 0xbf7ba420, v126
	v_add_f32_e32 v34, v35, v34
	v_fma_f32 v35, 0xbf59a7d5, v58, -v42
	s_delay_alu instid0(VALU_DEP_1) | instskip(SKIP_1) | instid1(VALU_DEP_1)
	v_add_f32_e32 v34, v35, v34
	v_fma_f32 v35, 0xbe8c1d8e, v11, -v43
	v_dual_mul_f32 v45, 0x3eb8f4ab, v5 :: v_dual_add_f32 v34, v35, v34
	v_fma_f32 v35, 0x3ee437d1, v8, -v44
	s_delay_alu instid0(VALU_DEP_1) | instskip(NEXT) | instid1(VALU_DEP_3)
	v_add_f32_e32 v34, v35, v34
	v_fma_f32 v35, 0x3f6eb680, v59, -v45
	s_delay_alu instid0(VALU_DEP_1) | instskip(SKIP_1) | instid1(VALU_DEP_1)
	v_add_f32_e32 v34, v35, v34
	v_fmamk_f32 v35, v15, 0x3f3d2fb0, v46
	v_add_f32_e32 v35, v129, v35
	s_delay_alu instid0(VALU_DEP_1) | instskip(SKIP_1) | instid1(VALU_DEP_1)
	v_dual_add_f32 v35, v48, v35 :: v_dual_mul_f32 v48, 0xbf4c4adb, v224
	v_fmac_f32_e32 v37, 0xbf1a4643, v223
	v_add_f32_e32 v36, v37, v36
	v_fma_f32 v37, 0x3f3d2fb0, v15, -v46
	v_fmac_f32_e32 v45, 0x3f6eb680, v59
	s_delay_alu instid0(VALU_DEP_2) | instskip(SKIP_1) | instid1(VALU_DEP_1)
	v_dual_add_f32 v37, v129, v37 :: v_dual_add_f32 v36, v40, v36
	v_fmac_f32_e32 v42, 0xbf59a7d5, v58
	v_add_f32_e32 v36, v42, v36
	v_fma_f32 v40, 0x3dbcf732, v203, -v47
	v_fmamk_f32 v49, v225, 0xbf1a4643, v48
	s_delay_alu instid0(VALU_DEP_2) | instskip(SKIP_1) | instid1(VALU_DEP_3)
	v_dual_mul_f32 v42, 0xbf65296c, v12 :: v_dual_add_f32 v37, v40, v37
	v_fma_f32 v40, 0xbf1a4643, v225, -v48
	v_dual_add_f32 v35, v49, v35 :: v_dual_fmac_f32 v44, 0x3ee437d1, v8
	s_delay_alu instid0(VALU_DEP_2) | instskip(SKIP_1) | instid1(VALU_DEP_1)
	v_add_f32_e32 v37, v40, v37
	v_mul_f32_e32 v49, 0xbe3c28d5, v127
	v_fmamk_f32 v50, v226, 0xbf7ba420, v49
	s_delay_alu instid0(VALU_DEP_1) | instskip(NEXT) | instid1(VALU_DEP_1)
	v_dual_add_f32 v35, v50, v35 :: v_dual_mul_f32 v50, 0x3f06c442, v56
	v_fmamk_f32 v54, v53, 0xbf59a7d5, v50
	s_delay_alu instid0(VALU_DEP_1) | instskip(SKIP_1) | instid1(VALU_DEP_2)
	v_dual_add_f32 v35, v54, v35 :: v_dual_mul_f32 v54, 0x3f763a35, v52
	v_fmac_f32_e32 v43, 0xbe8c1d8e, v11
	v_fmamk_f32 v55, v51, 0xbe8c1d8e, v54
	s_delay_alu instid0(VALU_DEP_2) | instskip(SKIP_1) | instid1(VALU_DEP_2)
	v_add_f32_e32 v36, v43, v36
	v_mul_f32_e32 v43, 0xbf4c4adb, v200
	v_add_f32_e32 v36, v44, v36
	v_fma_f32 v40, 0xbf7ba420, v226, -v49
	s_delay_alu instid0(VALU_DEP_3) | instskip(SKIP_1) | instid1(VALU_DEP_4)
	v_fma_f32 v41, 0xbf1a4643, v202, -v43
	v_mul_f32_e32 v44, 0xbf65296c, v14
	v_dual_fmac_f32 v43, 0xbf1a4643, v202 :: v_dual_add_f32 v36, v45, v36
	v_add_f32_e32 v35, v55, v35
	v_mul_f32_e32 v55, 0x3f65296c, v9
	v_add_f32_e32 v37, v40, v37
	v_fma_f32 v40, 0xbf59a7d5, v53, -v50
	v_mul_f32_e32 v45, 0xbf4c4adb, v201
	s_delay_alu instid0(VALU_DEP_4) | instskip(NEXT) | instid1(VALU_DEP_3)
	v_fmamk_f32 v227, v6, 0x3ee437d1, v55
	v_add_f32_e32 v37, v40, v37
	v_fma_f32 v40, 0xbe8c1d8e, v51, -v54
	s_delay_alu instid0(VALU_DEP_4) | instskip(NEXT) | instid1(VALU_DEP_4)
	v_fmamk_f32 v46, v203, 0xbf1a4643, v45
	v_add_f32_e32 v35, v227, v35
	v_mul_f32_e32 v227, 0x3eb8f4ab, v4
	s_delay_alu instid0(VALU_DEP_4) | instskip(SKIP_1) | instid1(VALU_DEP_1)
	v_add_f32_e32 v37, v40, v37
	v_fma_f32 v40, 0x3ee437d1, v6, -v55
	v_add_f32_e32 v37, v40, v37
	s_delay_alu instid0(VALU_DEP_4) | instskip(NEXT) | instid1(VALU_DEP_1)
	v_fma_f32 v40, 0x3f6eb680, v124, -v227
	v_add_f32_e32 v37, v40, v37
	v_fma_f32 v40, 0x3ee437d1, v13, -v42
	v_fmac_f32_e32 v42, 0x3ee437d1, v13
	s_delay_alu instid0(VALU_DEP_2) | instskip(NEXT) | instid1(VALU_DEP_2)
	v_add_f32_e32 v40, v128, v40
	v_add_f32_e32 v42, v128, v42
	v_fmamk_f32 v228, v124, 0x3f6eb680, v227
	s_delay_alu instid0(VALU_DEP_3) | instskip(NEXT) | instid1(VALU_DEP_2)
	v_dual_add_f32 v40, v41, v40 :: v_dual_fmamk_f32 v41, v15, 0x3ee437d1, v44
	v_dual_add_f32 v35, v228, v35 :: v_dual_add_f32 v42, v43, v42
	v_fma_f32 v43, 0x3ee437d1, v15, -v44
	s_delay_alu instid0(VALU_DEP_3) | instskip(NEXT) | instid1(VALU_DEP_2)
	v_add_f32_e32 v41, v129, v41
	v_add_f32_e32 v43, v129, v43
	s_delay_alu instid0(VALU_DEP_2) | instskip(NEXT) | instid1(VALU_DEP_1)
	v_dual_add_f32 v41, v46, v41 :: v_dual_mul_f32 v46, 0x3e3c28d5, v222
	v_fma_f32 v47, 0xbf7ba420, v223, -v46
	v_fmac_f32_e32 v46, 0xbf7ba420, v223
	s_delay_alu instid0(VALU_DEP_2) | instskip(NEXT) | instid1(VALU_DEP_2)
	v_add_f32_e32 v40, v47, v40
	v_dual_mul_f32 v47, 0x3e3c28d5, v224 :: v_dual_add_f32 v42, v46, v42
	s_delay_alu instid0(VALU_DEP_1) | instskip(NEXT) | instid1(VALU_DEP_1)
	v_fmamk_f32 v48, v225, 0xbf7ba420, v47
	v_add_f32_e32 v41, v48, v41
	v_mul_f32_e32 v48, 0x3f763a35, v125
	s_delay_alu instid0(VALU_DEP_1) | instskip(NEXT) | instid1(VALU_DEP_1)
	v_fma_f32 v49, 0xbe8c1d8e, v126, -v48
	v_dual_add_f32 v40, v49, v40 :: v_dual_mul_f32 v49, 0x3f763a35, v127
	v_fmac_f32_e32 v48, 0xbe8c1d8e, v126
	s_delay_alu instid0(VALU_DEP_2) | instskip(NEXT) | instid1(VALU_DEP_2)
	v_fmamk_f32 v50, v226, 0xbe8c1d8e, v49
	v_add_f32_e32 v42, v48, v42
	s_delay_alu instid0(VALU_DEP_2) | instskip(SKIP_1) | instid1(VALU_DEP_1)
	v_dual_mul_f32 v48, 0x3f763a35, v222 :: v_dual_add_f32 v41, v50, v41
	v_mul_f32_e32 v50, 0x3f2c7751, v57
	v_fma_f32 v54, 0x3f3d2fb0, v58, -v50
	v_fmac_f32_e32 v50, 0x3f3d2fb0, v58
	s_delay_alu instid0(VALU_DEP_2) | instskip(SKIP_1) | instid1(VALU_DEP_3)
	v_add_f32_e32 v40, v54, v40
	v_mul_f32_e32 v54, 0x3f2c7751, v56
	v_add_f32_e32 v42, v50, v42
	v_mul_f32_e32 v50, 0xbf65296c, v57
	s_delay_alu instid0(VALU_DEP_3) | instskip(NEXT) | instid1(VALU_DEP_1)
	v_fmamk_f32 v55, v53, 0x3f3d2fb0, v54
	v_add_f32_e32 v41, v55, v41
	v_mul_f32_e32 v55, 0xbeb8f4ab, v10
	s_delay_alu instid0(VALU_DEP_1) | instskip(NEXT) | instid1(VALU_DEP_1)
	v_fma_f32 v227, 0x3f6eb680, v11, -v55
	v_dual_fmac_f32 v55, 0x3f6eb680, v11 :: v_dual_add_f32 v40, v227, v40
	s_delay_alu instid0(VALU_DEP_1) | instskip(NEXT) | instid1(VALU_DEP_1)
	v_dual_mul_f32 v227, 0xbeb8f4ab, v52 :: v_dual_add_f32 v42, v55, v42
	v_fmamk_f32 v228, v51, 0x3f6eb680, v227
	s_delay_alu instid0(VALU_DEP_1) | instskip(NEXT) | instid1(VALU_DEP_1)
	v_dual_add_f32 v41, v228, v41 :: v_dual_mul_f32 v228, 0xbf7ee86f, v7
	v_fma_f32 v242, 0x3dbcf732, v8, -v228
	v_fmac_f32_e32 v228, 0x3dbcf732, v8
	s_delay_alu instid0(VALU_DEP_2) | instskip(SKIP_1) | instid1(VALU_DEP_1)
	v_add_f32_e32 v40, v242, v40
	v_mul_f32_e32 v242, 0xbf7ee86f, v9
	v_dual_add_f32 v42, v228, v42 :: v_dual_fmamk_f32 v243, v6, 0x3dbcf732, v242
	s_delay_alu instid0(VALU_DEP_1) | instskip(SKIP_1) | instid1(VALU_DEP_1)
	v_add_f32_e32 v41, v243, v41
	v_mul_f32_e32 v243, 0xbf06c442, v5
	v_fma_f32 v245, 0xbf59a7d5, v59, -v243
	s_delay_alu instid0(VALU_DEP_1) | instskip(SKIP_1) | instid1(VALU_DEP_2)
	v_dual_fmac_f32 v243, 0xbf59a7d5, v59 :: v_dual_add_f32 v40, v245, v40
	v_fma_f32 v44, 0xbf1a4643, v203, -v45
	v_dual_add_f32 v46, v243, v42 :: v_dual_mul_f32 v45, 0xbe3c28d5, v200
	s_delay_alu instid0(VALU_DEP_2) | instskip(SKIP_1) | instid1(VALU_DEP_1)
	v_add_f32_e32 v43, v44, v43
	v_fma_f32 v44, 0xbf7ba420, v225, -v47
	v_add_f32_e32 v43, v44, v43
	v_fma_f32 v44, 0xbe8c1d8e, v226, -v49
	v_mul_f32_e32 v49, 0x3eb8f4ab, v125
	s_delay_alu instid0(VALU_DEP_2) | instskip(SKIP_1) | instid1(VALU_DEP_1)
	v_add_f32_e32 v43, v44, v43
	v_fma_f32 v44, 0x3f3d2fb0, v53, -v54
	v_dual_mul_f32 v54, 0xbf06c442, v10 :: v_dual_add_f32 v43, v44, v43
	v_fma_f32 v44, 0x3f6eb680, v51, -v227
	s_delay_alu instid0(VALU_DEP_1) | instskip(SKIP_1) | instid1(VALU_DEP_1)
	v_add_f32_e32 v43, v44, v43
	v_fma_f32 v44, 0x3dbcf732, v6, -v242
	v_dual_mul_f32 v242, 0xbe3c28d5, v201 :: v_dual_add_f32 v43, v44, v43
	v_fma_f32 v44, 0xbf59a7d5, v124, -v244
	s_delay_alu instid0(VALU_DEP_1) | instskip(SKIP_2) | instid1(VALU_DEP_3)
	v_dual_add_f32 v47, v44, v43 :: v_dual_mul_f32 v44, 0xbf7ee86f, v12
	v_add_f32_e32 v41, v246, v41
	v_fma_f32 v43, 0xbf7ba420, v202, -v45
	v_fma_f32 v42, 0x3dbcf732, v13, -v44
	v_fmac_f32_e32 v44, 0x3dbcf732, v13
	s_delay_alu instid0(VALU_DEP_2) | instskip(NEXT) | instid1(VALU_DEP_2)
	v_add_f32_e32 v42, v128, v42
	v_add_f32_e32 v44, v128, v44
	s_delay_alu instid0(VALU_DEP_2) | instskip(SKIP_2) | instid1(VALU_DEP_2)
	v_add_f32_e32 v42, v43, v42
	v_fma_f32 v43, 0xbe8c1d8e, v223, -v48
	v_fmac_f32_e32 v48, 0xbe8c1d8e, v223
	v_add_f32_e32 v42, v43, v42
	v_fma_f32 v43, 0x3f6eb680, v126, -v49
	s_delay_alu instid0(VALU_DEP_1) | instskip(SKIP_2) | instid1(VALU_DEP_2)
	v_add_f32_e32 v42, v43, v42
	v_fma_f32 v43, 0x3ee437d1, v58, -v50
	v_fmac_f32_e32 v50, 0x3ee437d1, v58
	v_add_f32_e32 v42, v43, v42
	v_fma_f32 v43, 0xbf59a7d5, v11, -v54
	v_fmac_f32_e32 v45, 0xbf7ba420, v202
	s_delay_alu instid0(VALU_DEP_2)
	v_dual_add_f32 v42, v43, v42 :: v_dual_mul_f32 v55, 0x3f4c4adb, v7
	v_fmac_f32_e32 v49, 0x3f6eb680, v126
	v_fmamk_f32 v243, v203, 0xbf7ba420, v242
	v_mul_f32_e32 v228, 0xbf7ee86f, v14
	v_add_f32_e32 v44, v45, v44
	v_fma_f32 v43, 0xbf1a4643, v8, -v55
	s_delay_alu instid0(VALU_DEP_2) | instskip(NEXT) | instid1(VALU_DEP_2)
	v_add_f32_e32 v44, v48, v44
	v_dual_add_f32 v42, v43, v42 :: v_dual_mul_f32 v227, 0x3f2c7751, v5
	v_fmac_f32_e32 v55, 0xbf1a4643, v8
	s_delay_alu instid0(VALU_DEP_3) | instskip(NEXT) | instid1(VALU_DEP_3)
	v_add_f32_e32 v44, v49, v44
	v_fma_f32 v43, 0x3f3d2fb0, v59, -v227
	s_delay_alu instid0(VALU_DEP_1) | instskip(SKIP_2) | instid1(VALU_DEP_2)
	v_add_f32_e32 v42, v43, v42
	v_fmamk_f32 v43, v15, 0x3dbcf732, v228
	v_fmac_f32_e32 v227, 0x3f3d2fb0, v59
	v_add_f32_e32 v43, v129, v43
	s_delay_alu instid0(VALU_DEP_1) | instskip(SKIP_2) | instid1(VALU_DEP_2)
	v_add_f32_e32 v43, v243, v43
	v_mul_f32_e32 v243, 0x3f763a35, v224
	v_fma_f32 v45, 0x3dbcf732, v15, -v228
	v_fmamk_f32 v244, v225, 0xbe8c1d8e, v243
	s_delay_alu instid0(VALU_DEP_2) | instskip(NEXT) | instid1(VALU_DEP_2)
	v_add_f32_e32 v45, v129, v45
	v_add_f32_e32 v43, v244, v43
	v_mul_f32_e32 v244, 0x3eb8f4ab, v127
	v_fma_f32 v48, 0xbf7ba420, v203, -v242
	s_delay_alu instid0(VALU_DEP_1) | instskip(SKIP_2) | instid1(VALU_DEP_2)
	v_dual_add_f32 v45, v48, v45 :: v_dual_add_f32 v44, v50, v44
	v_fma_f32 v48, 0xbe8c1d8e, v225, -v243
	v_fmac_f32_e32 v54, 0xbf59a7d5, v11
	v_dual_mul_f32 v50, 0xbf763a35, v12 :: v_dual_add_f32 v45, v48, v45
	s_delay_alu instid0(VALU_DEP_2) | instskip(SKIP_3) | instid1(VALU_DEP_3)
	v_add_f32_e32 v44, v54, v44
	v_fmamk_f32 v245, v226, 0x3f6eb680, v244
	v_fma_f32 v48, 0x3f6eb680, v226, -v244
	v_mul_f32_e32 v54, 0x3f06c442, v200
	v_dual_add_f32 v44, v55, v44 :: v_dual_add_f32 v43, v245, v43
	v_mul_f32_e32 v245, 0xbf65296c, v56
	s_delay_alu instid0(VALU_DEP_4) | instskip(NEXT) | instid1(VALU_DEP_4)
	v_add_f32_e32 v45, v48, v45
	v_fma_f32 v49, 0xbf59a7d5, v202, -v54
	s_delay_alu instid0(VALU_DEP_4) | instskip(NEXT) | instid1(VALU_DEP_4)
	v_dual_add_f32 v44, v227, v44 :: v_dual_mul_f32 v227, 0x3f06c442, v201
	v_fmamk_f32 v246, v53, 0x3ee437d1, v245
	v_fma_f32 v48, 0x3ee437d1, v53, -v245
	v_mul_f32_e32 v55, 0xbf763a35, v14
	v_fmac_f32_e32 v54, 0xbf59a7d5, v202
	s_delay_alu instid0(VALU_DEP_4) | instskip(NEXT) | instid1(VALU_DEP_4)
	v_dual_fmamk_f32 v228, v203, 0xbf59a7d5, v227 :: v_dual_add_f32 v43, v246, v43
	v_dual_mul_f32 v246, 0xbf06c442, v52 :: v_dual_add_f32 v45, v48, v45
	s_delay_alu instid0(VALU_DEP_1) | instskip(SKIP_1) | instid1(VALU_DEP_2)
	v_fmamk_f32 v247, v51, 0xbf59a7d5, v246
	v_fma_f32 v48, 0xbf59a7d5, v51, -v246
	v_add_f32_e32 v43, v247, v43
	v_mul_f32_e32 v247, 0x3f4c4adb, v9
	s_delay_alu instid0(VALU_DEP_1) | instskip(SKIP_1) | instid1(VALU_DEP_2)
	v_dual_add_f32 v45, v48, v45 :: v_dual_fmamk_f32 v248, v6, 0xbf1a4643, v247
	v_fma_f32 v48, 0xbf1a4643, v6, -v247
	v_dual_add_f32 v43, v248, v43 :: v_dual_mul_f32 v248, 0x3f2c7751, v4
	s_delay_alu instid0(VALU_DEP_2) | instskip(NEXT) | instid1(VALU_DEP_2)
	v_add_f32_e32 v45, v48, v45
	v_fma_f32 v48, 0x3f3d2fb0, v124, -v248
	s_delay_alu instid0(VALU_DEP_1) | instskip(SKIP_2) | instid1(VALU_DEP_2)
	v_add_f32_e32 v45, v48, v45
	v_fma_f32 v48, 0xbe8c1d8e, v13, -v50
	v_fmac_f32_e32 v50, 0xbe8c1d8e, v13
	v_add_f32_e32 v48, v128, v48
	v_fmamk_f32 v249, v124, 0x3f3d2fb0, v248
	s_delay_alu instid0(VALU_DEP_3) | instskip(NEXT) | instid1(VALU_DEP_3)
	v_add_f32_e32 v50, v128, v50
	v_dual_add_f32 v48, v49, v48 :: v_dual_fmamk_f32 v49, v15, 0xbe8c1d8e, v55
	s_delay_alu instid0(VALU_DEP_2) | instskip(NEXT) | instid1(VALU_DEP_2)
	v_dual_add_f32 v50, v54, v50 :: v_dual_add_f32 v43, v249, v43
	v_add_f32_e32 v49, v129, v49
	s_delay_alu instid0(VALU_DEP_1) | instskip(NEXT) | instid1(VALU_DEP_1)
	v_dual_add_f32 v49, v228, v49 :: v_dual_mul_f32 v228, 0x3f2c7751, v222
	v_fma_f32 v242, 0x3f3d2fb0, v223, -v228
	v_fmac_f32_e32 v228, 0x3f3d2fb0, v223
	s_delay_alu instid0(VALU_DEP_2) | instskip(SKIP_1) | instid1(VALU_DEP_3)
	v_add_f32_e32 v48, v242, v48
	v_mul_f32_e32 v242, 0x3f2c7751, v224
	v_add_f32_e32 v50, v228, v50
	v_mul_f32_e32 v228, 0x3f763a35, v200
	s_delay_alu instid0(VALU_DEP_3) | instskip(NEXT) | instid1(VALU_DEP_1)
	v_fmamk_f32 v243, v225, 0x3f3d2fb0, v242
	v_add_f32_e32 v49, v243, v49
	v_mul_f32_e32 v243, 0xbf65296c, v125
	s_delay_alu instid0(VALU_DEP_1) | instskip(NEXT) | instid1(VALU_DEP_1)
	v_fma_f32 v244, 0x3ee437d1, v126, -v243
	v_add_f32_e32 v48, v244, v48
	v_mul_f32_e32 v244, 0xbf65296c, v127
	v_fma_f32 v54, 0xbe8c1d8e, v15, -v55
	s_delay_alu instid0(VALU_DEP_1) | instskip(NEXT) | instid1(VALU_DEP_1)
	v_dual_fmamk_f32 v245, v226, 0x3ee437d1, v244 :: v_dual_add_f32 v54, v129, v54
	v_add_f32_e32 v49, v245, v49
	v_mul_f32_e32 v245, 0xbe3c28d5, v57
	s_delay_alu instid0(VALU_DEP_1) | instskip(NEXT) | instid1(VALU_DEP_1)
	v_fma_f32 v246, 0xbf7ba420, v58, -v245
	v_dual_fmac_f32 v245, 0xbf7ba420, v58 :: v_dual_add_f32 v48, v246, v48
	v_mul_f32_e32 v246, 0xbe3c28d5, v56
	s_delay_alu instid0(VALU_DEP_1) | instskip(NEXT) | instid1(VALU_DEP_1)
	v_fmamk_f32 v247, v53, 0xbf7ba420, v246
	v_add_f32_e32 v49, v247, v49
	v_mul_f32_e32 v247, 0x3f7ee86f, v10
	s_delay_alu instid0(VALU_DEP_1) | instskip(NEXT) | instid1(VALU_DEP_1)
	v_fma_f32 v248, 0x3dbcf732, v11, -v247
	v_dual_fmac_f32 v247, 0x3dbcf732, v11 :: v_dual_add_f32 v48, v248, v48
	v_mul_f32_e32 v248, 0x3f7ee86f, v52
	v_fma_f32 v55, 0xbf59a7d5, v203, -v227
	s_delay_alu instid0(VALU_DEP_2) | instskip(NEXT) | instid1(VALU_DEP_2)
	v_fmamk_f32 v249, v51, 0x3dbcf732, v248
	v_add_f32_e32 v54, v55, v54
	v_fma_f32 v55, 0x3f3d2fb0, v225, -v242
	v_fma_f32 v242, 0xbe8c1d8e, v202, -v228
	s_delay_alu instid0(VALU_DEP_4) | instskip(NEXT) | instid1(VALU_DEP_3)
	v_add_f32_e32 v49, v249, v49
	v_dual_mul_f32 v249, 0xbeb8f4ab, v7 :: v_dual_add_f32 v54, v55, v54
	v_fma_f32 v55, 0x3ee437d1, v226, -v244
	s_delay_alu instid0(VALU_DEP_2) | instskip(NEXT) | instid1(VALU_DEP_2)
	v_fma_f32 v250, 0x3f6eb680, v8, -v249
	v_add_f32_e32 v54, v55, v54
	v_fma_f32 v55, 0xbf7ba420, v53, -v246
	s_delay_alu instid0(VALU_DEP_3) | instskip(SKIP_1) | instid1(VALU_DEP_3)
	v_add_f32_e32 v48, v250, v48
	v_mul_f32_e32 v250, 0xbeb8f4ab, v9
	v_dual_fmac_f32 v249, 0x3f6eb680, v8 :: v_dual_add_f32 v54, v55, v54
	v_fma_f32 v55, 0x3dbcf732, v51, -v248
	s_delay_alu instid0(VALU_DEP_1) | instskip(SKIP_1) | instid1(VALU_DEP_2)
	v_dual_fmamk_f32 v251, v6, 0x3f6eb680, v250 :: v_dual_add_f32 v54, v55, v54
	v_fma_f32 v55, 0x3f6eb680, v6, -v250
	v_add_f32_e32 v49, v251, v49
	v_mul_f32_e32 v251, 0xbf4c4adb, v5
	s_delay_alu instid0(VALU_DEP_3) | instskip(NEXT) | instid1(VALU_DEP_2)
	v_add_f32_e32 v55, v55, v54
	v_fma_f32 v253, 0xbf1a4643, v59, -v251
	s_delay_alu instid0(VALU_DEP_1) | instskip(SKIP_1) | instid1(VALU_DEP_1)
	v_dual_fmac_f32 v251, 0xbf1a4643, v59 :: v_dual_add_f32 v48, v253, v48
	v_fmac_f32_e32 v243, 0x3ee437d1, v126
	v_add_f32_e32 v50, v243, v50
	s_delay_alu instid0(VALU_DEP_1) | instskip(NEXT) | instid1(VALU_DEP_1)
	v_add_f32_e32 v50, v245, v50
	v_add_f32_e32 v50, v247, v50
	s_delay_alu instid0(VALU_DEP_1) | instskip(SKIP_1) | instid1(VALU_DEP_2)
	v_dual_add_f32 v50, v249, v50 :: v_dual_add_f32 v49, v254, v49
	v_fma_f32 v227, 0xbf1a4643, v124, -v252
	v_add_f32_e32 v54, v251, v50
	v_mul_f32_e32 v251, 0xbf06c442, v14
	s_delay_alu instid0(VALU_DEP_3) | instskip(SKIP_1) | instid1(VALU_DEP_3)
	v_add_f32_e32 v55, v227, v55
	v_mul_f32_e32 v227, 0xbf4c4adb, v12
	v_fmamk_f32 v253, v15, 0xbf59a7d5, v251
	s_delay_alu instid0(VALU_DEP_2) | instskip(NEXT) | instid1(VALU_DEP_1)
	v_fma_f32 v50, 0xbf1a4643, v13, -v227
	v_dual_fmac_f32 v227, 0xbf1a4643, v13 :: v_dual_add_f32 v50, v128, v50
	s_delay_alu instid0(VALU_DEP_1) | instskip(SKIP_1) | instid1(VALU_DEP_1)
	v_dual_add_f32 v227, v128, v227 :: v_dual_add_f32 v50, v242, v50
	v_mul_f32_e32 v242, 0xbeb8f4ab, v222
	v_fma_f32 v243, 0x3f6eb680, v223, -v242
	s_delay_alu instid0(VALU_DEP_1) | instskip(NEXT) | instid1(VALU_DEP_1)
	v_dual_add_f32 v50, v243, v50 :: v_dual_mul_f32 v243, 0xbf06c442, v125
	v_fma_f32 v244, 0xbf59a7d5, v126, -v243
	v_fmac_f32_e32 v243, 0xbf59a7d5, v126
	v_fmac_f32_e32 v242, 0x3f6eb680, v223
	s_delay_alu instid0(VALU_DEP_3) | instskip(SKIP_1) | instid1(VALU_DEP_1)
	v_add_f32_e32 v50, v244, v50
	v_mul_f32_e32 v244, 0x3f7ee86f, v57
	v_fma_f32 v245, 0x3dbcf732, v58, -v244
	s_delay_alu instid0(VALU_DEP_1) | instskip(SKIP_1) | instid1(VALU_DEP_1)
	v_add_f32_e32 v50, v245, v50
	v_mul_f32_e32 v245, 0xbf2c7751, v10
	v_fma_f32 v246, 0x3f3d2fb0, v11, -v245
	s_delay_alu instid0(VALU_DEP_1) | instskip(SKIP_1) | instid1(VALU_DEP_1)
	v_add_f32_e32 v50, v246, v50
	v_mul_f32_e32 v246, 0xbe3c28d5, v7
	v_fma_f32 v247, 0xbf7ba420, v8, -v246
	s_delay_alu instid0(VALU_DEP_1) | instskip(NEXT) | instid1(VALU_DEP_1)
	v_dual_add_f32 v50, v247, v50 :: v_dual_mul_f32 v247, 0x3f65296c, v5
	v_fma_f32 v248, 0x3ee437d1, v59, -v247
	s_delay_alu instid0(VALU_DEP_1) | instskip(SKIP_2) | instid1(VALU_DEP_2)
	v_dual_fmac_f32 v247, 0x3ee437d1, v59 :: v_dual_add_f32 v50, v248, v50
	v_mul_f32_e32 v248, 0xbf06c442, v12
	v_mul_f32_e32 v12, 0xbe3c28d5, v12
	v_fma_f32 v249, 0xbf59a7d5, v13, -v248
	s_delay_alu instid0(VALU_DEP_2) | instskip(SKIP_2) | instid1(VALU_DEP_3)
	v_fma_f32 v250, 0xbf7ba420, v13, -v12
	v_fmac_f32_e32 v12, 0xbf7ba420, v13
	v_fmac_f32_e32 v248, 0xbf59a7d5, v13
	v_add_f32_e32 v250, v128, v250
	s_delay_alu instid0(VALU_DEP_3) | instskip(SKIP_1) | instid1(VALU_DEP_4)
	v_add_f32_e32 v12, v128, v12
	v_fma_f32 v251, 0xbf59a7d5, v15, -v251
	v_dual_mul_f32 v13, 0xbf4c4adb, v14 :: v_dual_add_f32 v248, v128, v248
	v_mul_f32_e32 v14, 0xbe3c28d5, v14
	s_delay_alu instid0(VALU_DEP_2) | instskip(SKIP_1) | instid1(VALU_DEP_3)
	v_fmamk_f32 v252, v15, 0xbf1a4643, v13
	v_fma_f32 v13, 0xbf1a4643, v15, -v13
	v_fmamk_f32 v254, v15, 0xbf7ba420, v14
	v_fma_f32 v14, 0xbf7ba420, v15, -v14
	s_delay_alu instid0(VALU_DEP_4) | instskip(NEXT) | instid1(VALU_DEP_4)
	v_dual_add_f32 v15, v129, v252 :: v_dual_mul_f32 v252, 0x3f763a35, v201
	v_add_f32_e32 v13, v129, v13
	s_delay_alu instid0(VALU_DEP_2) | instskip(NEXT) | instid1(VALU_DEP_1)
	v_dual_add_f32 v14, v129, v14 :: v_dual_fmamk_f32 v229, v203, 0xbe8c1d8e, v252
	v_dual_add_f32 v15, v229, v15 :: v_dual_fmac_f32 v228, 0xbe8c1d8e, v202
	v_mul_f32_e32 v229, 0x3f65296c, v200
	s_delay_alu instid0(VALU_DEP_2) | instskip(SKIP_3) | instid1(VALU_DEP_3)
	v_dual_mul_f32 v200, 0x3eb8f4ab, v200 :: v_dual_add_f32 v227, v228, v227
	v_fma_f32 v228, 0xbe8c1d8e, v203, -v252
	v_mul_f32_e32 v252, 0x3f65296c, v201
	v_mul_f32_e32 v201, 0x3eb8f4ab, v201
	v_add_f32_e32 v13, v228, v13
	v_add_f32_e32 v228, v128, v249
	v_fma_f32 v249, 0x3ee437d1, v202, -v229
	v_fmac_f32_e32 v229, 0x3ee437d1, v202
	v_fmac_f32_e32 v246, 0xbf7ba420, v8
	s_delay_alu instid0(VALU_DEP_3)
	v_add_f32_e32 v228, v249, v228
	v_add_f32_e32 v249, v129, v253
	v_fmamk_f32 v253, v203, 0x3ee437d1, v252
	v_add_f32_e32 v229, v229, v248
	v_add_f32_e32 v248, v129, v251
	v_fma_f32 v251, 0x3ee437d1, v203, -v252
	s_delay_alu instid0(VALU_DEP_4) | instskip(NEXT) | instid1(VALU_DEP_2)
	v_dual_fmamk_f32 v252, v203, 0x3f6eb680, v201 :: v_dual_add_f32 v249, v253, v249
	v_dual_fmac_f32 v245, 0x3f3d2fb0, v11 :: v_dual_add_f32 v248, v251, v248
	v_fma_f32 v251, 0x3f6eb680, v202, -v200
	v_fmac_f32_e32 v200, 0x3f6eb680, v202
	s_delay_alu instid0(VALU_DEP_1) | instskip(SKIP_1) | instid1(VALU_DEP_1)
	v_add_f32_e32 v12, v200, v12
	v_fma_f32 v200, 0x3f6eb680, v203, -v201
	v_dual_mul_f32 v203, 0xbf7ee86f, v224 :: v_dual_add_f32 v14, v200, v14
	v_mul_f32_e32 v200, 0xbeb8f4ab, v224
	s_delay_alu instid0(VALU_DEP_1) | instskip(SKIP_1) | instid1(VALU_DEP_2)
	v_dual_add_f32 v250, v251, v250 :: v_dual_fmamk_f32 v201, v225, 0x3f6eb680, v200
	v_fma_f32 v200, 0x3f6eb680, v225, -v200
	v_add_f32_e32 v15, v201, v15
	v_add_f32_e32 v201, v242, v227
	v_fmamk_f32 v227, v225, 0x3dbcf732, v203
	s_delay_alu instid0(VALU_DEP_4) | instskip(SKIP_2) | instid1(VALU_DEP_4)
	v_add_f32_e32 v13, v200, v13
	v_fma_f32 v203, 0x3dbcf732, v225, -v203
	v_add_f32_e32 v251, v129, v254
	v_dual_add_f32 v227, v227, v249 :: v_dual_mul_f32 v200, 0xbf7ee86f, v222
	s_delay_alu instid0(VALU_DEP_3) | instskip(NEXT) | instid1(VALU_DEP_2)
	v_dual_add_f32 v203, v203, v248 :: v_dual_mul_f32 v222, 0xbf06c442, v222
	v_fma_f32 v202, 0x3dbcf732, v223, -v200
	v_fmac_f32_e32 v200, 0x3dbcf732, v223
	s_delay_alu instid0(VALU_DEP_2) | instskip(NEXT) | instid1(VALU_DEP_4)
	v_add_f32_e32 v202, v202, v228
	v_fma_f32 v228, 0xbf59a7d5, v223, -v222
	v_fmac_f32_e32 v222, 0xbf59a7d5, v223
	v_mul_f32_e32 v223, 0xbf06c442, v224
	s_delay_alu instid0(VALU_DEP_2) | instskip(NEXT) | instid1(VALU_DEP_2)
	v_add_f32_e32 v12, v222, v12
	v_fmamk_f32 v224, v225, 0xbf59a7d5, v223
	v_fma_f32 v223, 0xbf59a7d5, v225, -v223
	v_mul_f32_e32 v222, 0xbf06c442, v127
	v_add_f32_e32 v200, v200, v229
	v_add_f32_e32 v225, v228, v250
	s_delay_alu instid0(VALU_DEP_3) | instskip(SKIP_1) | instid1(VALU_DEP_2)
	v_dual_add_f32 v14, v223, v14 :: v_dual_fmamk_f32 v223, v226, 0xbf59a7d5, v222
	v_fma_f32 v222, 0xbf59a7d5, v226, -v222
	v_add_f32_e32 v15, v223, v15
	s_delay_alu instid0(VALU_DEP_2) | instskip(SKIP_3) | instid1(VALU_DEP_3)
	v_add_f32_e32 v13, v222, v13
	v_mul_f32_e32 v222, 0x3f4c4adb, v125
	v_mul_f32_e32 v125, 0x3f2c7751, v125
	v_add_f32_e32 v251, v252, v251
	v_fma_f32 v223, 0xbf1a4643, v126, -v222
	v_fmac_f32_e32 v222, 0xbf1a4643, v126
	s_delay_alu instid0(VALU_DEP_2) | instskip(NEXT) | instid1(VALU_DEP_2)
	v_dual_add_f32 v202, v223, v202 :: v_dual_mul_f32 v223, 0x3f4c4adb, v127
	v_add_f32_e32 v200, v222, v200
	v_fma_f32 v222, 0x3f3d2fb0, v126, -v125
	v_fmac_f32_e32 v125, 0x3f3d2fb0, v126
	v_mul_f32_e32 v126, 0x3f2c7751, v127
	v_fmamk_f32 v228, v226, 0xbf1a4643, v223
	v_fma_f32 v127, 0xbf1a4643, v226, -v223
	s_delay_alu instid0(VALU_DEP_4) | instskip(NEXT) | instid1(VALU_DEP_4)
	v_dual_add_f32 v201, v243, v201 :: v_dual_add_f32 v12, v125, v12
	v_fmamk_f32 v223, v226, 0x3f3d2fb0, v126
	v_fma_f32 v126, 0x3f3d2fb0, v226, -v126
	v_mul_f32_e32 v125, 0x3f7ee86f, v56
	v_add_f32_e32 v127, v127, v203
	v_add_f32_e32 v203, v222, v225
	s_delay_alu instid0(VALU_DEP_4) | instskip(NEXT) | instid1(VALU_DEP_4)
	v_add_f32_e32 v14, v126, v14
	v_fmamk_f32 v126, v53, 0x3dbcf732, v125
	v_fma_f32 v125, 0x3dbcf732, v53, -v125
	s_delay_alu instid0(VALU_DEP_2) | instskip(NEXT) | instid1(VALU_DEP_2)
	v_add_f32_e32 v15, v126, v15
	v_dual_add_f32 v224, v224, v251 :: v_dual_add_f32 v13, v125, v13
	v_mul_f32_e32 v125, 0xbeb8f4ab, v57
	v_fmac_f32_e32 v244, 0x3dbcf732, v58
	s_delay_alu instid0(VALU_DEP_3) | instskip(NEXT) | instid1(VALU_DEP_2)
	v_dual_mul_f32 v57, 0xbf4c4adb, v57 :: v_dual_add_f32 v222, v223, v224
	v_add_f32_e32 v126, v244, v201
	s_delay_alu instid0(VALU_DEP_4) | instskip(SKIP_1) | instid1(VALU_DEP_2)
	v_fma_f32 v201, 0x3f6eb680, v58, -v125
	v_fmac_f32_e32 v125, 0x3f6eb680, v58
	v_dual_mul_f32 v244, 0x3f7ee86f, v5 :: v_dual_add_f32 v201, v201, v202
	s_delay_alu instid0(VALU_DEP_2) | instskip(SKIP_4) | instid1(VALU_DEP_3)
	v_add_f32_e32 v125, v125, v200
	v_fma_f32 v200, 0xbf1a4643, v58, -v57
	v_fmac_f32_e32 v57, 0xbf1a4643, v58
	v_mul_f32_e32 v202, 0xbeb8f4ab, v56
	v_dual_mul_f32 v56, 0xbf4c4adb, v56 :: v_dual_add_f32 v227, v228, v227
	v_add_f32_e32 v12, v57, v12
	s_delay_alu instid0(VALU_DEP_3) | instskip(SKIP_1) | instid1(VALU_DEP_4)
	v_fmamk_f32 v223, v53, 0x3f6eb680, v202
	v_fma_f32 v58, 0x3f6eb680, v53, -v202
	v_fmamk_f32 v202, v53, 0xbf1a4643, v56
	v_fma_f32 v53, 0xbf1a4643, v53, -v56
	s_delay_alu instid0(VALU_DEP_4) | instskip(NEXT) | instid1(VALU_DEP_4)
	v_add_f32_e32 v223, v223, v227
	v_add_f32_e32 v56, v58, v127
	s_delay_alu instid0(VALU_DEP_3) | instskip(SKIP_2) | instid1(VALU_DEP_3)
	v_dual_add_f32 v14, v53, v14 :: v_dual_mul_f32 v53, 0xbf2c7751, v52
	v_add_f32_e32 v58, v200, v203
	v_mul_f32_e32 v200, 0xbe3c28d5, v52
	v_fmamk_f32 v57, v51, 0x3f3d2fb0, v53
	v_fma_f32 v53, 0x3f3d2fb0, v51, -v53
	s_delay_alu instid0(VALU_DEP_2) | instskip(NEXT) | instid1(VALU_DEP_2)
	v_add_f32_e32 v15, v57, v15
	v_add_f32_e32 v13, v53, v13
	v_mul_f32_e32 v53, 0xbe3c28d5, v10
	v_add_f32_e32 v57, v245, v126
	v_mul_f32_e32 v10, 0x3f65296c, v10
	v_mul_f32_e32 v245, 0x3f7ee86f, v4
	s_delay_alu instid0(VALU_DEP_4) | instskip(NEXT) | instid1(VALU_DEP_1)
	v_fma_f32 v126, 0xbf7ba420, v11, -v53
	v_dual_add_f32 v126, v126, v201 :: v_dual_fmac_f32 v53, 0xbf7ba420, v11
	v_fmamk_f32 v201, v51, 0xbf7ba420, v200
	s_delay_alu instid0(VALU_DEP_2) | instskip(NEXT) | instid1(VALU_DEP_2)
	v_add_f32_e32 v53, v53, v125
	v_add_f32_e32 v201, v201, v223
	v_fma_f32 v125, 0x3ee437d1, v11, -v10
	v_fmac_f32_e32 v10, 0x3ee437d1, v11
	v_mul_f32_e32 v11, 0x3f65296c, v52
	v_fma_f32 v52, 0xbf7ba420, v51, -v200
	s_delay_alu instid0(VALU_DEP_3) | instskip(NEXT) | instid1(VALU_DEP_3)
	v_add_f32_e32 v10, v10, v12
	v_fmamk_f32 v200, v51, 0x3ee437d1, v11
	v_fma_f32 v11, 0x3ee437d1, v51, -v11
	s_delay_alu instid0(VALU_DEP_4) | instskip(SKIP_1) | instid1(VALU_DEP_3)
	v_dual_add_f32 v51, v52, v56 :: v_dual_mul_f32 v12, 0xbe3c28d5, v9
	v_add_f32_e32 v52, v125, v58
	v_dual_add_f32 v11, v11, v14 :: v_dual_mul_f32 v58, 0x3f2c7751, v9
	s_delay_alu instid0(VALU_DEP_3) | instskip(SKIP_2) | instid1(VALU_DEP_2)
	v_fmamk_f32 v14, v6, 0xbf7ba420, v12
	v_fma_f32 v12, 0xbf7ba420, v6, -v12
	v_add_f32_e32 v127, v202, v222
	v_dual_fmamk_f32 v125, v6, 0x3f3d2fb0, v58 :: v_dual_add_f32 v12, v12, v13
	v_mul_f32_e32 v13, 0x3f2c7751, v7
	v_add_f32_e32 v14, v14, v15
	v_add_f32_e32 v15, v246, v57
	v_mul_f32_e32 v7, 0xbf763a35, v7
	s_delay_alu instid0(VALU_DEP_4) | instskip(SKIP_1) | instid1(VALU_DEP_2)
	v_fma_f32 v57, 0x3f3d2fb0, v8, -v13
	v_fmac_f32_e32 v13, 0x3f3d2fb0, v8
	v_dual_add_f32 v57, v57, v126 :: v_dual_add_f32 v56, v200, v127
	v_add_f32_e32 v200, v125, v201
	s_delay_alu instid0(VALU_DEP_3) | instskip(SKIP_1) | instid1(VALU_DEP_1)
	v_add_f32_e32 v126, v13, v53
	v_fma_f32 v13, 0x3f3d2fb0, v6, -v58
	v_add_f32_e32 v127, v13, v51
	v_fma_f32 v13, 0xbe8c1d8e, v8, -v7
	v_fmac_f32_e32 v7, 0xbe8c1d8e, v8
	v_mul_f32_e32 v8, 0xbf763a35, v9
	s_delay_alu instid0(VALU_DEP_2) | instskip(NEXT) | instid1(VALU_DEP_2)
	v_dual_add_f32 v58, v13, v52 :: v_dual_add_f32 v125, v7, v10
	v_fmamk_f32 v9, v6, 0xbe8c1d8e, v8
	v_dual_mul_f32 v7, 0x3f65296c, v4 :: v_dual_add_f32 v52, v247, v15
	v_fma_f32 v6, 0xbe8c1d8e, v6, -v8
	s_delay_alu instid0(VALU_DEP_3) | instskip(NEXT) | instid1(VALU_DEP_3)
	v_add_f32_e32 v242, v9, v56
	v_fmamk_f32 v8, v124, 0x3ee437d1, v7
	v_fma_f32 v7, 0x3ee437d1, v124, -v7
	s_delay_alu instid0(VALU_DEP_4) | instskip(NEXT) | instid1(VALU_DEP_3)
	v_dual_add_f32 v243, v6, v11 :: v_dual_fmamk_f32 v6, v124, 0x3dbcf732, v245
	v_dual_add_f32 v51, v8, v14 :: v_dual_mul_f32 v8, 0xbf763a35, v4
	scratch_load_b32 v4, off, off offset:340 th:TH_LOAD_LU ; 4-byte Folded Reload
	v_add_f32_e32 v53, v7, v12
	v_fma_f32 v247, 0xbe8c1d8e, v124, -v8
	v_mul_f32_e32 v246, 0xbf763a35, v5
	v_fma_f32 v5, 0x3dbcf732, v59, -v244
	v_fmac_f32_e32 v244, 0x3dbcf732, v59
	s_delay_alu instid0(VALU_DEP_4) | instskip(NEXT) | instid1(VALU_DEP_4)
	v_add_f32_e32 v127, v247, v127
	v_fma_f32 v9, 0xbe8c1d8e, v59, -v246
	s_delay_alu instid0(VALU_DEP_4) | instskip(SKIP_1) | instid1(VALU_DEP_3)
	v_add_f32_e32 v58, v5, v58
	v_fma_f32 v5, 0x3dbcf732, v124, -v245
	v_add_f32_e32 v56, v9, v57
	s_wait_loadcnt 0x0
	v_and_b32_e32 v4, 0xffff, v4
	s_delay_alu instid0(VALU_DEP_1) | instskip(NEXT) | instid1(VALU_DEP_1)
	v_mul_u32_u24_e32 v4, 0x77, v4
	v_add_nc_u32_e32 v0, v4, v0
	scratch_load_b32 v4, off, off offset:344 th:TH_LOAD_LU ; 4-byte Folded Reload
	global_wb scope:SCOPE_SE
	s_wait_loadcnt 0x0
	s_wait_storecnt 0x0
	s_barrier_signal -1
	s_barrier_wait -1
	v_lshl_add_u32 v0, v0, 3, v196
	global_inv scope:SCOPE_SE
	ds_store_2addr_b64 v0, v[154:155], v[164:165] offset1:7
	ds_store_2addr_b64 v0, v[160:161], v[162:163] offset0:14 offset1:21
	ds_store_2addr_b64 v0, v[156:157], v[158:159] offset0:28 offset1:35
	;; [unrolled: 1-line block ×4, first 2 shown]
	v_and_b32_e32 v4, 0xffff, v4
	s_delay_alu instid0(VALU_DEP_1) | instskip(SKIP_3) | instid1(VALU_DEP_3)
	v_mul_u32_u24_e32 v4, 0x77, v4
	v_dual_fmac_f32 v246, 0xbe8c1d8e, v59 :: v_dual_add_f32 v59, v6, v242
	v_fmamk_f32 v10, v124, 0xbe8c1d8e, v8
	v_dual_add_f32 v124, v244, v125 :: v_dual_add_f32 v125, v5, v243
	v_dual_add_f32 v126, v246, v126 :: v_dual_add_nc_u32 v1, v4, v1
	s_delay_alu instid0(VALU_DEP_3) | instskip(NEXT) | instid1(VALU_DEP_2)
	v_add_f32_e32 v57, v10, v200
	v_lshl_add_u32 v1, v1, 3, v196
	ds_store_2addr_b64 v0, v[144:145], v[142:143] offset0:70 offset1:77
	ds_store_2addr_b64 v0, v[138:139], v[136:137] offset0:84 offset1:91
	;; [unrolled: 1-line block ×3, first 2 shown]
	ds_store_b64 v0, v[130:131] offset:896
	ds_store_2addr_b64 v1, v[166:167], v[198:199] offset1:7
	ds_store_2addr_b64 v1, v[192:193], v[194:195] offset0:14 offset1:21
	ds_store_2addr_b64 v1, v[188:189], v[190:191] offset0:28 offset1:35
	;; [unrolled: 1-line block ×4, first 2 shown]
	scratch_load_b32 v4, off, off offset:320 th:TH_LOAD_LU ; 4-byte Folded Reload
	s_wait_loadcnt 0x0
	v_and_b32_e32 v4, 0xff, v4
	scratch_store_b32 off, v4, off offset:320 ; 4-byte Folded Spill
	ds_store_2addr_b64 v1, v[178:179], v[176:177] offset0:70 offset1:77
	ds_store_2addr_b64 v1, v[174:175], v[172:173] offset0:84 offset1:91
	;; [unrolled: 1-line block ×3, first 2 shown]
	ds_store_b64 v1, v[140:141] offset:896
	s_and_saveexec_b32 s10, vcc_lo
	s_cbranch_execz .LBB0_5
; %bb.4:
	scratch_load_b32 v6, off, off offset:320 ; 4-byte Folded Reload
	v_dual_add_f32 v4, v129, v238 :: v_dual_add_f32 v5, v128, v237
	s_delay_alu instid0(VALU_DEP_1) | instskip(NEXT) | instid1(VALU_DEP_1)
	v_dual_add_f32 v4, v4, v210 :: v_dual_add_f32 v5, v5, v20
	v_dual_add_f32 v4, v4, v211 :: v_dual_add_f32 v5, v5, v21
	s_delay_alu instid0(VALU_DEP_1) | instskip(NEXT) | instid1(VALU_DEP_1)
	v_dual_add_f32 v4, v4, v212 :: v_dual_add_f32 v5, v5, v22
	;; [unrolled: 3-line block ×7, first 2 shown]
	v_dual_add_f32 v3, v4, v3 :: v_dual_add_f32 v4, v5, v232
	s_delay_alu instid0(VALU_DEP_1) | instskip(NEXT) | instid1(VALU_DEP_2)
	v_add_f32_e32 v3, v3, v2
	v_add_f32_e32 v2, v4, v230
	s_wait_loadcnt 0x0
	v_lshl_add_u32 v6, v6, 3, v196
	s_delay_alu instid0(VALU_DEP_1)
	v_add_nc_u32_e32 v7, 0x800, v6
	v_add_nc_u32_e32 v8, 0x1000, v6
	ds_store_2addr_b64 v7, v[34:35], v[40:41] offset0:234 offset1:241
	ds_store_2addr_b64 v7, v[42:43], v[48:49] offset0:248 offset1:255
	;; [unrolled: 1-line block ×8, first 2 shown]
	ds_store_b64 v6, v[38:39] offset:4704
.LBB0_5:
	s_wait_alu 0xfffe
	s_or_b32 exec_lo, exec_lo, s10
	scratch_load_b32 v24, off, off          ; 4-byte Folded Reload
	v_lshlrev_b32_e32 v2, 5, v208
	global_wb scope:SCOPE_SE
	s_wait_storecnt 0x0
	s_wait_loadcnt_dscnt 0x0
	s_barrier_signal -1
	s_barrier_wait -1
	global_inv scope:SCOPE_SE
	s_add_nc_u64 s[4:5], s[4:5], 0x1298
	v_lshlrev_b32_e32 v164, 5, v24
	v_lshl_add_u32 v254, v24, 3, v196
	s_clause 0x3
	global_load_b128 v[140:143], v164, s[6:7] offset:896
	global_load_b128 v[128:131], v2, s[6:7] offset:896
	;; [unrolled: 1-line block ×4, first 2 shown]
	v_add_nc_u32_e32 v2, 0x800, v255
	ds_load_2addr_b64 v[4:7], v255 offset0:238 offset1:255
	ds_load_2addr_b64 v[8:11], v2 offset0:220 offset1:237
	s_wait_loadcnt_dscnt 0x301
	v_mul_f32_e32 v3, v4, v143
	s_wait_loadcnt 0x2
	v_mul_f32_e32 v13, v7, v131
	s_wait_loadcnt_dscnt 0x100
	v_mul_f32_e32 v14, v9, v135
	s_wait_loadcnt 0x0
	v_mul_f32_e32 v166, v10, v139
	v_mul_f32_e32 v165, v6, v131
	v_fmac_f32_e32 v3, v5, v142
	v_fma_f32 v167, v6, v130, -v13
	v_add_nc_u32_e32 v156, 0xcc0, v164
	v_fmac_f32_e32 v166, v11, v138
	v_dual_mul_f32 v12, v5, v143 :: v_dual_fmac_f32 v165, v7, v130
	s_delay_alu instid0(VALU_DEP_1) | instskip(SKIP_1) | instid1(VALU_DEP_1)
	v_fma_f32 v174, v4, v142, -v12
	v_mul_f32_e32 v4, v11, v139
	v_fma_f32 v168, v10, v138, -v4
	ds_load_2addr_b64 v[4:7], v255 offset0:136 offset1:153
	v_mul_f32_e32 v173, v8, v135
	s_delay_alu instid0(VALU_DEP_1)
	v_fmac_f32_e32 v173, v9, v134
	scratch_load_b32 v9, off, off offset:296 th:TH_LOAD_LU ; 4-byte Folded Reload
	s_wait_dscnt 0x0
	v_mul_f32_e32 v169, v4, v129
	s_wait_loadcnt 0x0
	v_lshlrev_b32_e32 v9, 5, v9
	s_clause 0x1
	global_load_b128 v[148:151], v9, s[6:7] offset:896
	global_load_b128 v[144:147], v9, s[6:7] offset:912
	v_fma_f32 v175, v8, v134, -v14
	v_mul_f32_e32 v8, v5, v129
	v_fmac_f32_e32 v169, v5, v128
	ds_load_2addr_b64 v[160:163], v2 offset0:84 offset1:101
	v_fma_f32 v170, v4, v128, -v8
	s_wait_loadcnt 0x1
	v_mul_f32_e32 v4, v7, v149
	v_mul_f32_e32 v185, v6, v149
	s_delay_alu instid0(VALU_DEP_2) | instskip(NEXT) | instid1(VALU_DEP_2)
	v_fma_f32 v184, v6, v148, -v4
	v_fmac_f32_e32 v185, v7, v148
	ds_load_2addr_b64 v[4:7], v2 offset0:118 offset1:135
	s_clause 0x1
	global_load_b128 v[152:155], v156, s[6:7] offset:896
	global_load_b128 v[156:159], v156, s[6:7] offset:912
	scratch_store_b32 off, v196, off offset:296 ; 4-byte Folded Spill
	s_wait_dscnt 0x0
	v_mul_f32_e32 v8, v5, v137
	v_mul_f32_e32 v171, v4, v137
	s_wait_loadcnt 0x2
	v_mul_f32_e32 v187, v6, v145
	s_delay_alu instid0(VALU_DEP_3) | instskip(NEXT) | instid1(VALU_DEP_3)
	v_fma_f32 v172, v4, v136, -v8
	v_dual_fmac_f32 v171, v5, v136 :: v_dual_mul_f32 v4, v7, v145
	s_delay_alu instid0(VALU_DEP_1) | instskip(SKIP_2) | instid1(VALU_DEP_1)
	v_fma_f32 v186, v6, v144, -v4
	s_wait_loadcnt 0x1
	v_dual_mul_f32 v4, v163, v133 :: v_dual_mul_f32 v5, v160, v155
	v_fma_f32 v176, v162, v132, -v4
	v_dual_mul_f32 v4, v161, v155 :: v_dual_fmac_f32 v187, v7, v144
	v_mul_f32_e32 v162, v162, v133
	ds_load_2addr_b64 v[6:9], v255 offset0:102 offset1:119
	v_sub_f32_e32 v190, v174, v176
	v_fma_f32 v4, v160, v154, -v4
	v_fmac_f32_e32 v162, v163, v132
	s_wait_dscnt 0x0
	s_delay_alu instid0(VALU_DEP_1) | instskip(SKIP_1) | instid1(VALU_DEP_2)
	v_dual_sub_f32 v201, v3, v162 :: v_dual_mul_f32 v10, v9, v141
	v_mul_f32_e32 v13, v8, v141
	v_fma_f32 v12, v8, v140, -v10
	s_delay_alu instid0(VALU_DEP_2)
	v_fmac_f32_e32 v13, v9, v140
	ds_load_2addr_b64 v[8:11], v255 offset1:17
	v_fmac_f32_e32 v5, v161, v154
	v_dual_add_f32 v161, v174, v176 :: v_dual_sub_f32 v200, v12, v175
	v_dual_sub_f32 v160, v12, v174 :: v_dual_sub_f32 v163, v174, v12
	s_wait_dscnt 0x0
	v_dual_add_f32 v14, v8, v12 :: v_dual_add_nc_u32 v191, 0xc00, v255
	v_dual_add_f32 v15, v9, v13 :: v_dual_add_f32 v12, v12, v175
	v_fma_f32 v180, -0.5, v161, v8
	s_delay_alu instid0(VALU_DEP_2) | instskip(SKIP_1) | instid1(VALU_DEP_4)
	v_dual_add_f32 v14, v14, v174 :: v_dual_add_f32 v15, v15, v3
	v_sub_f32_e32 v174, v175, v176
	v_fma_f32 v8, -0.5, v12, v8
	s_delay_alu instid0(VALU_DEP_3) | instskip(SKIP_1) | instid1(VALU_DEP_3)
	v_dual_add_f32 v14, v14, v176 :: v_dual_add_f32 v15, v15, v162
	v_sub_f32_e32 v176, v176, v175
	v_fmamk_f32 v188, v201, 0xbf737871, v8
	s_delay_alu instid0(VALU_DEP_3)
	v_dual_add_f32 v178, v14, v175 :: v_dual_add_f32 v179, v15, v173
	v_dual_add_f32 v14, v3, v162 :: v_dual_sub_f32 v15, v13, v3
	v_sub_f32_e32 v202, v13, v173
	v_sub_f32_e32 v3, v3, v13
	v_add_f32_e32 v13, v13, v173
	v_dual_sub_f32 v175, v173, v162 :: v_dual_sub_f32 v162, v162, v173
	v_fma_f32 v181, -0.5, v14, v9
	v_add_f32_e32 v173, v160, v174
	s_delay_alu instid0(VALU_DEP_4) | instskip(NEXT) | instid1(VALU_DEP_4)
	v_fma_f32 v9, -0.5, v13, v9
	v_add_f32_e32 v14, v15, v175
	v_add_f32_e32 v12, v163, v176
	v_dual_fmamk_f32 v182, v202, 0x3f737871, v180 :: v_dual_add_f32 v13, v3, v162
	v_fmac_f32_e32 v8, 0x3f737871, v201
	v_fmac_f32_e32 v180, 0xbf737871, v202
	v_add_nc_u32_e32 v3, 0x1000, v255
	ds_load_b64 v[198:199], v255 offset:4624
	ds_load_2addr_b64 v[192:195], v255 offset0:34 offset1:51
	ds_load_2addr_b64 v[160:163], v255 offset0:170 offset1:187
	;; [unrolled: 1-line block ×10, first 2 shown]
	v_fmamk_f32 v183, v200, 0xbf737871, v181
	v_fmamk_f32 v189, v190, 0x3f737871, v9
	v_fmac_f32_e32 v9, 0xbf737871, v190
	v_fmac_f32_e32 v181, 0x3f737871, v200
	;; [unrolled: 1-line block ×3, first 2 shown]
	v_dual_fmac_f32 v183, 0xbf167918, v190 :: v_dual_fmac_f32 v180, 0xbf167918, v201
	v_fmac_f32_e32 v188, 0x3f167918, v202
	v_dual_fmac_f32 v189, 0xbf167918, v200 :: v_dual_fmac_f32 v8, 0xbf167918, v202
	v_fmac_f32_e32 v9, 0x3f167918, v200
	v_fmac_f32_e32 v181, 0x3f167918, v190
	v_dual_fmac_f32 v182, 0x3e9e377a, v173 :: v_dual_fmac_f32 v183, 0x3e9e377a, v14
	s_delay_alu instid0(VALU_DEP_4) | instskip(NEXT) | instid1(VALU_DEP_4)
	v_dual_fmac_f32 v188, 0x3e9e377a, v12 :: v_dual_fmac_f32 v189, 0x3e9e377a, v13
	v_dual_fmac_f32 v8, 0x3e9e377a, v12 :: v_dual_fmac_f32 v9, 0x3e9e377a, v13
	s_delay_alu instid0(VALU_DEP_4)
	v_dual_fmac_f32 v180, 0x3e9e377a, v173 :: v_dual_fmac_f32 v181, 0x3e9e377a, v14
	ds_store_b64 v254, v[182:183] offset:952
	ds_store_b64 v254, v[188:189] offset:1904
	;; [unrolled: 1-line block ×4, first 2 shown]
	v_dual_add_f32 v8, v10, v170 :: v_dual_add_f32 v9, v11, v169
	v_sub_f32_e32 v13, v170, v167
	v_sub_f32_e32 v15, v170, v168
	s_wait_dscnt 0x8
	v_mul_f32_e32 v201, v215, v147
	v_dual_add_f32 v8, v8, v167 :: v_dual_add_f32 v9, v9, v165
	v_sub_f32_e32 v12, v167, v172
	s_delay_alu instid0(VALU_DEP_3) | instskip(NEXT) | instid1(VALU_DEP_3)
	v_dual_add_f32 v14, v170, v168 :: v_dual_fmac_f32 v201, v216, v146
	v_dual_add_f32 v8, v8, v172 :: v_dual_add_f32 v9, v9, v171
	v_mul_f32_e32 v200, v174, v151
	s_delay_alu instid0(VALU_DEP_2) | instskip(NEXT) | instid1(VALU_DEP_2)
	v_dual_add_f32 v8, v8, v168 :: v_dual_add_f32 v9, v9, v166
	v_fmac_f32_e32 v200, v175, v150
	ds_store_2addr_b64 v255, v[178:179], v[8:9] offset1:17
	v_add_f32_e32 v8, v167, v172
	v_sub_f32_e32 v9, v167, v170
	v_dual_sub_f32 v167, v172, v168 :: v_dual_add_f32 v170, v165, v171
	v_sub_f32_e32 v168, v168, v172
	v_dual_sub_f32 v172, v165, v169 :: v_dual_sub_f32 v179, v171, v166
	v_fma_f32 v8, -0.5, v8, v10
	v_fma_f32 v10, -0.5, v14, v10
	v_add_f32_e32 v14, v9, v167
	v_fma_f32 v9, -0.5, v170, v11
	v_sub_f32_e32 v173, v165, v171
	v_sub_f32_e32 v165, v169, v165
	v_add_f32_e32 v178, v169, v166
	v_dual_sub_f32 v169, v169, v166 :: v_dual_add_f32 v170, v172, v179
	v_sub_f32_e32 v166, v166, v171
	s_delay_alu instid0(VALU_DEP_1) | instskip(NEXT) | instid1(VALU_DEP_3)
	v_add_f32_e32 v171, v165, v166
	v_fmamk_f32 v165, v169, 0x3f737871, v8
	v_dual_fmamk_f32 v166, v15, 0xbf737871, v9 :: v_dual_fmamk_f32 v167, v173, 0xbf737871, v10
	v_dual_fmac_f32 v10, 0x3f737871, v173 :: v_dual_fmac_f32 v9, 0x3f737871, v15
	s_delay_alu instid0(VALU_DEP_3) | instskip(NEXT) | instid1(VALU_DEP_3)
	v_fmac_f32_e32 v165, 0x3f167918, v173
	v_dual_fmac_f32 v11, -0.5, v178 :: v_dual_fmac_f32 v166, 0xbf167918, v12
	v_dual_add_f32 v13, v13, v168 :: v_dual_fmac_f32 v8, 0xbf737871, v169
	v_fmac_f32_e32 v167, 0x3f167918, v169
	s_delay_alu instid0(VALU_DEP_3)
	v_fmamk_f32 v168, v12, 0x3f737871, v11
	v_fmac_f32_e32 v11, 0xbf737871, v12
	v_fmac_f32_e32 v10, 0xbf167918, v169
	;; [unrolled: 1-line block ×6, first 2 shown]
	v_dual_fmac_f32 v165, 0x3e9e377a, v13 :: v_dual_fmac_f32 v166, 0x3e9e377a, v171
	v_dual_fmac_f32 v167, 0x3e9e377a, v14 :: v_dual_fmac_f32 v8, 0x3e9e377a, v13
	s_delay_alu instid0(VALU_DEP_4) | instskip(NEXT) | instid1(VALU_DEP_4)
	v_dual_fmac_f32 v168, 0x3e9e377a, v170 :: v_dual_fmac_f32 v9, 0x3e9e377a, v171
	v_fmac_f32_e32 v11, 0x3e9e377a, v170
	s_wait_loadcnt 0x0
	v_dual_mul_f32 v13, v198, v159 :: v_dual_fmac_f32 v10, 0x3e9e377a, v14
	ds_store_b64 v254, v[165:166] offset:1088
	v_fmac_f32_e32 v13, v199, v158
	ds_store_b64 v254, v[10:11] offset:2992
	ds_store_b64 v254, v[167:168] offset:2040
	;; [unrolled: 1-line block ×3, first 2 shown]
	v_mul_f32_e32 v8, v175, v151
	v_mul_f32_e32 v10, v199, v159
	v_sub_f32_e32 v11, v201, v187
	v_sub_f32_e32 v238, v200, v187
	s_delay_alu instid0(VALU_DEP_4) | instskip(SKIP_3) | instid1(VALU_DEP_3)
	v_fma_f32 v14, v174, v150, -v8
	v_mul_f32_e32 v8, v216, v147
	v_fma_f32 v12, v198, v158, -v10
	v_sub_f32_e32 v10, v185, v200
	v_fma_f32 v15, v215, v146, -v8
	v_sub_f32_e32 v8, v184, v14
	s_delay_alu instid0(VALU_DEP_3) | instskip(SKIP_4) | instid1(VALU_DEP_3)
	v_add_f32_e32 v202, v10, v11
	s_wait_dscnt 0x9
	v_mul_f32_e32 v10, v234, v157
	v_dual_sub_f32 v236, v185, v201 :: v_dual_sub_f32 v237, v184, v15
	v_sub_f32_e32 v9, v15, v186
	v_fma_f32 v203, v233, v156, -v10
	v_mul_f32_e32 v10, v214, v153
	s_delay_alu instid0(VALU_DEP_3) | instskip(SKIP_1) | instid1(VALU_DEP_4)
	v_add_f32_e32 v190, v8, v9
	v_add_f32_e32 v9, v200, v187
	v_sub_f32_e32 v165, v203, v12
	s_delay_alu instid0(VALU_DEP_4) | instskip(SKIP_3) | instid1(VALU_DEP_4)
	v_fma_f32 v215, v213, v152, -v10
	v_add_f32_e32 v8, v14, v186
	v_dual_add_f32 v10, v4, v203 :: v_dual_mul_f32 v213, v213, v153
	v_fma_f32 v9, -0.5, v9, v193
	v_add_f32_e32 v11, v215, v12
	s_delay_alu instid0(VALU_DEP_4) | instskip(SKIP_2) | instid1(VALU_DEP_4)
	v_fma_f32 v8, -0.5, v8, v192
	v_dual_mul_f32 v233, v233, v157 :: v_dual_add_f32 v216, v6, v215
	v_fma_f32 v10, -0.5, v10, v6
	v_fma_f32 v6, -0.5, v11, v6
	v_sub_f32_e32 v11, v4, v215
	v_dual_fmac_f32 v213, v214, v152 :: v_dual_fmamk_f32 v188, v236, 0x3f737871, v8
	v_fmac_f32_e32 v233, v234, v156
	s_delay_alu instid0(VALU_DEP_3) | instskip(NEXT) | instid1(VALU_DEP_3)
	v_dual_fmac_f32 v8, 0xbf737871, v236 :: v_dual_add_f32 v235, v11, v165
	v_dual_add_f32 v214, v7, v213 :: v_dual_fmamk_f32 v189, v237, 0xbf737871, v9
	s_delay_alu instid0(VALU_DEP_3) | instskip(SKIP_1) | instid1(VALU_DEP_4)
	v_add_f32_e32 v11, v5, v233
	v_sub_f32_e32 v166, v233, v13
	v_dual_add_f32 v165, v213, v13 :: v_dual_fmac_f32 v8, 0xbf167918, v238
	v_dual_sub_f32 v239, v14, v186 :: v_dual_sub_f32 v240, v5, v233
	v_fmac_f32_e32 v9, 0x3f737871, v237
	v_fma_f32 v11, -0.5, v11, v7
	s_delay_alu instid0(VALU_DEP_4) | instskip(NEXT) | instid1(VALU_DEP_4)
	v_fmac_f32_e32 v7, -0.5, v165
	v_dual_sub_f32 v165, v5, v213 :: v_dual_fmamk_f32 v198, v240, 0xbf737871, v6
	v_fmac_f32_e32 v6, 0x3f737871, v240
	v_dual_fmac_f32 v9, 0x3f167918, v239 :: v_dual_sub_f32 v242, v213, v13
	s_delay_alu instid0(VALU_DEP_3) | instskip(SKIP_1) | instid1(VALU_DEP_3)
	v_dual_sub_f32 v241, v4, v203 :: v_dual_add_f32 v234, v165, v166
	v_dual_sub_f32 v243, v215, v12 :: v_dual_fmac_f32 v8, 0x3e9e377a, v190
	v_fmac_f32_e32 v6, 0xbf167918, v242
	s_delay_alu instid0(VALU_DEP_3) | instskip(SKIP_4) | instid1(VALU_DEP_4)
	v_fmamk_f32 v199, v241, 0x3f737871, v7
	v_fmac_f32_e32 v7, 0xbf737871, v241
	v_fmac_f32_e32 v9, 0x3e9e377a, v202
	;; [unrolled: 1-line block ×4, first 2 shown]
	v_dual_fmac_f32 v198, 0x3f167918, v242 :: v_dual_fmac_f32 v7, 0x3f167918, v243
	s_delay_alu instid0(VALU_DEP_3) | instskip(NEXT) | instid1(VALU_DEP_2)
	v_fmac_f32_e32 v188, 0x3e9e377a, v190
	v_dual_fmac_f32 v198, 0x3e9e377a, v235 :: v_dual_fmac_f32 v7, 0x3e9e377a, v234
	ds_store_2addr_b64 v2, v[6:7], v[8:9] offset0:203 offset1:254
	scratch_load_b32 v6, off, off offset:328 th:TH_LOAD_LU ; 4-byte Folded Reload
	v_sub_f32_e32 v8, v200, v185
	s_wait_loadcnt 0x0
	v_lshlrev_b32_e32 v6, 5, v6
	s_clause 0x1
	global_load_b128 v[172:175], v6, s[6:7] offset:896
	global_load_b128 v[180:183], v6, s[6:7] offset:912
	s_wait_loadcnt 0x1
	v_mul_f32_e32 v6, v177, v175
	v_mul_f32_e32 v245, v176, v175
	v_mul_f32_e32 v247, v160, v173
	s_delay_alu instid0(VALU_DEP_3) | instskip(SKIP_1) | instid1(VALU_DEP_3)
	v_fma_f32 v244, v176, v174, -v6
	s_wait_loadcnt 0x0
	v_dual_mul_f32 v6, v218, v183 :: v_dual_fmac_f32 v245, v177, v174
	s_delay_alu instid0(VALU_DEP_3) | instskip(NEXT) | instid1(VALU_DEP_2)
	v_fmac_f32_e32 v247, v161, v172
	v_fma_f32 v246, v217, v182, -v6
	scratch_load_b32 v6, off, off offset:324 th:TH_LOAD_LU ; 4-byte Folded Reload
	s_wait_loadcnt 0x0
	v_dual_mul_f32 v217, v217, v183 :: v_dual_lshlrev_b32 v6, 5, v6
	s_clause 0x1
	global_load_b128 v[176:179], v6, s[6:7] offset:896
	global_load_b128 v[168:171], v6, s[6:7] offset:912
	v_mul_f32_e32 v7, v161, v173
	s_wait_loadcnt 0x1
	v_mul_f32_e32 v6, v163, v177
	s_wait_loadcnt 0x0
	v_dual_mul_f32 v249, v162, v177 :: v_dual_mul_f32 v22, v227, v171
	s_delay_alu instid0(VALU_DEP_2) | instskip(SKIP_1) | instid1(VALU_DEP_3)
	v_fma_f32 v248, v162, v176, -v6
	v_mul_f32_e32 v6, v220, v181
	v_fmac_f32_e32 v22, v228, v170
	s_delay_alu instid0(VALU_DEP_2) | instskip(SKIP_2) | instid1(VALU_DEP_3)
	v_fma_f32 v250, v219, v180, -v6
	v_mul_f32_e32 v219, v219, v181
	v_mul_f32_e32 v6, v222, v169
	v_sub_f32_e32 v197, v250, v246
	s_delay_alu instid0(VALU_DEP_3) | instskip(NEXT) | instid1(VALU_DEP_3)
	v_fmac_f32_e32 v219, v220, v180
	v_fma_f32 v220, v221, v168, -v6
	v_dual_fmac_f32 v217, v218, v182 :: v_dual_add_nc_u32 v6, 0xaa0, v164
	v_fma_f32 v218, v160, v172, -v7
	v_sub_f32_e32 v7, v186, v15
	v_fmac_f32_e32 v249, v163, v176
	s_clause 0x1
	global_load_b128 v[164:167], v6, s[6:7] offset:896
	global_load_b128 v[160:163], v6, s[6:7] offset:912
	v_mul_f32_e32 v221, v221, v169
	v_dual_sub_f32 v9, v187, v201 :: v_dual_sub_f32 v20, v218, v246
	v_dual_add_f32 v196, v194, v218 :: v_dual_sub_f32 v17, v245, v219
	v_sub_f32_e32 v18, v244, v250
	s_delay_alu instid0(VALU_DEP_3) | instskip(SKIP_2) | instid1(VALU_DEP_2)
	v_add_f32_e32 v253, v8, v9
	v_dual_add_f32 v8, v244, v250 :: v_dual_fmac_f32 v221, v222, v168
	v_add_f32_e32 v9, v218, v246
	v_fma_f32 v8, -0.5, v8, v194
	s_delay_alu instid0(VALU_DEP_2) | instskip(SKIP_1) | instid1(VALU_DEP_1)
	v_fma_f32 v194, -0.5, v9, v194
	v_sub_f32_e32 v9, v244, v218
	v_add_f32_e32 v197, v9, v197
	v_add_f32_e32 v9, v245, v219
	s_delay_alu instid0(VALU_DEP_1) | instskip(SKIP_3) | instid1(VALU_DEP_2)
	v_fma_f32 v9, -0.5, v9, v195
	s_wait_loadcnt 0x1
	v_mul_f32_e32 v6, v212, v165
	v_sub_f32_e32 v206, v219, v217
	v_fma_f32 v222, v211, v164, -v6
	v_mul_f32_e32 v6, v224, v179
	s_delay_alu instid0(VALU_DEP_1) | instskip(SKIP_1) | instid1(VALU_DEP_1)
	v_fma_f32 v252, v223, v178, -v6
	v_mul_f32_e32 v223, v223, v179
	v_dual_mul_f32 v6, v226, v167 :: v_dual_fmac_f32 v223, v224, v178
	s_delay_alu instid0(VALU_DEP_1)
	v_fma_f32 v224, v225, v166, -v6
	s_wait_loadcnt 0x0
	v_dual_mul_f32 v225, v225, v167 :: v_dual_mul_f32 v6, v232, v161
	v_add_f32_e32 v205, v247, v217
	v_add_f32_e32 v204, v195, v247
	v_sub_f32_e32 v19, v247, v217
	s_delay_alu instid0(VALU_DEP_4)
	v_fmac_f32_e32 v225, v226, v166
	v_fma_f32 v226, v231, v160, -v6
	v_dual_mul_f32 v231, v231, v161 :: v_dual_sub_f32 v6, v14, v184
	v_fmac_f32_e32 v195, -0.5, v205
	v_sub_f32_e32 v205, v245, v247
	v_mul_f32_e32 v251, v211, v165
	v_fmamk_f32 v211, v17, 0xbf737871, v194
	v_dual_fmac_f32 v194, 0x3f737871, v17 :: v_dual_fmac_f32 v231, v232, v160
	v_add_f32_e32 v232, v6, v7
	v_dual_add_f32 v6, v184, v15 :: v_dual_add_f32 v7, v185, v201
	v_add_f32_e32 v16, v205, v206
	s_delay_alu instid0(VALU_DEP_4) | instskip(SKIP_1) | instid1(VALU_DEP_4)
	v_fmac_f32_e32 v194, 0xbf167918, v19
	v_fmac_f32_e32 v189, 0xbf167918, v239
	v_fma_f32 v6, -0.5, v6, v192
	v_fmac_f32_e32 v251, v212, v164
	v_fmamk_f32 v212, v18, 0x3f737871, v195
	v_fma_f32 v7, -0.5, v7, v193
	v_fmac_f32_e32 v195, 0xbf737871, v18
	v_fmamk_f32 v205, v238, 0xbf737871, v6
	v_fmac_f32_e32 v6, 0x3f737871, v238
	v_fmac_f32_e32 v194, 0x3e9e377a, v197
	v_fmamk_f32 v206, v239, 0x3f737871, v7
	v_fmac_f32_e32 v7, 0xbf737871, v239
	v_fmac_f32_e32 v195, 0x3f167918, v20
	;; [unrolled: 1-line block ×9, first 2 shown]
	v_sub_f32_e32 v16, v223, v249
	v_fmac_f32_e32 v7, 0x3e9e377a, v253
	v_fmac_f32_e32 v189, 0x3e9e377a, v202
	v_sub_f32_e32 v202, v224, v226
	v_fmac_f32_e32 v206, 0x3e9e377a, v253
	ds_store_2addr_b64 v2, v[6:7], v[194:195] offset0:135 offset1:152
	v_sub_f32_e32 v194, v252, v220
	v_dual_add_f32 v6, v192, v184 :: v_dual_add_f32 v7, v193, v185
	v_dual_sub_f32 v193, v223, v221 :: v_dual_mul_f32 v192, v229, v163
	s_delay_alu instid0(VALU_DEP_2) | instskip(SKIP_1) | instid1(VALU_DEP_3)
	v_dual_add_f32 v6, v6, v14 :: v_dual_add_f32 v7, v7, v200
	v_add_f32_e32 v14, v196, v244
	v_fmac_f32_e32 v192, v230, v162
	v_add_f32_e32 v196, v209, v222
	s_delay_alu instid0(VALU_DEP_4) | instskip(NEXT) | instid1(VALU_DEP_4)
	v_dual_add_f32 v6, v6, v186 :: v_dual_add_f32 v7, v7, v187
	v_add_f32_e32 v14, v14, v250
	s_delay_alu instid0(VALU_DEP_4) | instskip(SKIP_1) | instid1(VALU_DEP_4)
	v_sub_f32_e32 v186, v231, v192
	v_sub_f32_e32 v200, v225, v231
	v_dual_add_f32 v6, v6, v15 :: v_dual_add_f32 v15, v204, v245
	s_delay_alu instid0(VALU_DEP_4) | instskip(SKIP_1) | instid1(VALU_DEP_3)
	v_dual_add_f32 v7, v7, v201 :: v_dual_add_f32 v184, v14, v246
	v_dual_sub_f32 v14, v247, v245 :: v_dual_fmac_f32 v211, 0x3f167918, v19
	v_add_f32_e32 v15, v15, v219
	v_sub_f32_e32 v201, v251, v192
	s_delay_alu instid0(VALU_DEP_2)
	v_add_f32_e32 v185, v15, v217
	v_sub_f32_e32 v15, v217, v219
	ds_store_2addr_b64 v255, v[6:7], v[184:185] offset0:34 offset1:51
	v_sub_f32_e32 v6, v218, v244
	v_sub_f32_e32 v7, v246, v250
	v_add_f32_e32 v14, v14, v15
	v_sub_f32_e32 v184, v221, v22
	s_delay_alu instid0(VALU_DEP_3) | instskip(SKIP_1) | instid1(VALU_DEP_3)
	v_add_f32_e32 v190, v6, v7
	v_dual_fmamk_f32 v6, v19, 0x3f737871, v8 :: v_dual_mul_f32 v21, v228, v171
	v_add_f32_e32 v16, v16, v184
	v_fmac_f32_e32 v8, 0xbf737871, v19
	s_delay_alu instid0(VALU_DEP_3) | instskip(NEXT) | instid1(VALU_DEP_4)
	v_dual_fmac_f32 v6, 0x3f167918, v17 :: v_dual_mul_f32 v23, v230, v163
	v_fma_f32 v21, v227, v170, -v21
	s_delay_alu instid0(VALU_DEP_3) | instskip(NEXT) | instid1(VALU_DEP_3)
	v_fmac_f32_e32 v8, 0xbf167918, v17
	v_fmac_f32_e32 v6, 0x3e9e377a, v190
	s_delay_alu instid0(VALU_DEP_4) | instskip(NEXT) | instid1(VALU_DEP_4)
	v_fma_f32 v23, v229, v162, -v23
	v_sub_f32_e32 v17, v21, v220
	v_fmamk_f32 v7, v20, 0xbf737871, v9
	v_sub_f32_e32 v195, v248, v21
	s_delay_alu instid0(VALU_DEP_4) | instskip(SKIP_1) | instid1(VALU_DEP_4)
	v_dual_fmac_f32 v9, 0x3f737871, v20 :: v_dual_sub_f32 v204, v222, v23
	v_fmac_f32_e32 v8, 0x3e9e377a, v190
	v_fmac_f32_e32 v7, 0xbf167918, v18
	v_add_nc_u32_e32 v190, 0x400, v255
	s_delay_alu instid0(VALU_DEP_4) | instskip(NEXT) | instid1(VALU_DEP_3)
	v_dual_fmac_f32 v9, 0x3f167918, v18 :: v_dual_sub_f32 v18, v22, v221
	v_fmac_f32_e32 v7, 0x3e9e377a, v14
	s_delay_alu instid0(VALU_DEP_2) | instskip(SKIP_4) | instid1(VALU_DEP_2)
	v_dual_fmac_f32 v9, 0x3e9e377a, v14 :: v_dual_sub_f32 v14, v248, v252
	ds_store_2addr_b64 v255, v[188:189], v[6:7] offset0:153 offset1:170
	v_sub_f32_e32 v6, v252, v248
	v_sub_f32_e32 v7, v220, v21
	v_dual_sub_f32 v189, v249, v22 :: v_dual_add_f32 v14, v14, v17
	v_dual_add_f32 v15, v6, v7 :: v_dual_add_f32 v6, v248, v21
	v_add_f32_e32 v7, v249, v22
	s_delay_alu instid0(VALU_DEP_2) | instskip(NEXT) | instid1(VALU_DEP_2)
	v_fma_f32 v6, -0.5, v6, v207
	v_fma_f32 v7, -0.5, v7, v208
	s_delay_alu instid0(VALU_DEP_2) | instskip(NEXT) | instid1(VALU_DEP_2)
	v_fmamk_f32 v184, v193, 0xbf737871, v6
	v_dual_fmamk_f32 v185, v194, 0x3f737871, v7 :: v_dual_fmac_f32 v6, 0x3f737871, v193
	v_fmac_f32_e32 v7, 0xbf737871, v194
	s_delay_alu instid0(VALU_DEP_3) | instskip(NEXT) | instid1(VALU_DEP_3)
	v_fmac_f32_e32 v184, 0x3f167918, v189
	v_dual_fmac_f32 v185, 0xbf167918, v195 :: v_dual_fmac_f32 v6, 0xbf167918, v189
	s_delay_alu instid0(VALU_DEP_3) | instskip(NEXT) | instid1(VALU_DEP_3)
	v_fmac_f32_e32 v7, 0x3f167918, v195
	v_dual_fmac_f32 v211, 0x3e9e377a, v197 :: v_dual_fmac_f32 v184, 0x3e9e377a, v15
	s_delay_alu instid0(VALU_DEP_3) | instskip(NEXT) | instid1(VALU_DEP_3)
	v_dual_fmac_f32 v185, 0x3e9e377a, v16 :: v_dual_fmac_f32 v6, 0x3e9e377a, v15
	v_fmac_f32_e32 v7, 0x3e9e377a, v16
	v_dual_add_f32 v15, v224, v226 :: v_dual_add_f32 v16, v222, v23
	ds_store_2addr_b64 v2, v[211:212], v[184:185] offset0:33 offset1:50
	v_add_f32_e32 v197, v210, v251
	v_fma_f32 v184, -0.5, v15, v209
	v_fma_f32 v209, -0.5, v16, v209
	v_dual_sub_f32 v15, v224, v222 :: v_dual_sub_f32 v16, v226, v23
	s_delay_alu instid0(VALU_DEP_1) | instskip(NEXT) | instid1(VALU_DEP_1)
	v_dual_add_f32 v15, v15, v16 :: v_dual_add_f32 v16, v225, v231
	v_fma_f32 v185, -0.5, v16, v210
	v_add_f32_e32 v16, v251, v192
	s_delay_alu instid0(VALU_DEP_1) | instskip(NEXT) | instid1(VALU_DEP_1)
	v_fmac_f32_e32 v210, -0.5, v16
	v_dual_sub_f32 v16, v225, v251 :: v_dual_fmamk_f32 v187, v202, 0x3f737871, v210
	s_delay_alu instid0(VALU_DEP_1) | instskip(SKIP_3) | instid1(VALU_DEP_3)
	v_add_f32_e32 v16, v16, v186
	v_fmamk_f32 v186, v200, 0xbf737871, v209
	v_fmac_f32_e32 v209, 0x3f737871, v200
	v_fmac_f32_e32 v210, 0xbf737871, v202
	v_dual_fmac_f32 v205, 0x3f167918, v236 :: v_dual_fmac_f32 v186, 0x3f167918, v201
	s_delay_alu instid0(VALU_DEP_3) | instskip(NEXT) | instid1(VALU_DEP_3)
	v_fmac_f32_e32 v209, 0xbf167918, v201
	v_fmac_f32_e32 v210, 0x3f167918, v204
	s_delay_alu instid0(VALU_DEP_3) | instskip(NEXT) | instid1(VALU_DEP_2)
	v_fmac_f32_e32 v186, 0x3e9e377a, v15
	v_dual_fmac_f32 v209, 0x3e9e377a, v15 :: v_dual_fmac_f32 v210, 0x3e9e377a, v16
	ds_store_2addr_b64 v2, v[6:7], v[209:210] offset0:169 offset1:186
	v_add_f32_e32 v6, v252, v220
	s_delay_alu instid0(VALU_DEP_1) | instskip(SKIP_1) | instid1(VALU_DEP_2)
	v_fma_f32 v6, -0.5, v6, v207
	v_add_f32_e32 v7, v223, v221
	v_dual_add_f32 v207, v207, v248 :: v_dual_fmamk_f32 v188, v189, 0x3f737871, v6
	v_fmac_f32_e32 v6, 0xbf737871, v189
	s_delay_alu instid0(VALU_DEP_3) | instskip(SKIP_1) | instid1(VALU_DEP_4)
	v_fma_f32 v7, -0.5, v7, v208
	v_dual_sub_f32 v17, v249, v223 :: v_dual_add_f32 v208, v208, v249
	v_fmac_f32_e32 v188, 0x3f167918, v193
	s_delay_alu instid0(VALU_DEP_4) | instskip(NEXT) | instid1(VALU_DEP_4)
	v_fmac_f32_e32 v6, 0xbf167918, v193
	v_fmamk_f32 v189, v195, 0xbf737871, v7
	v_fmac_f32_e32 v7, 0x3f737871, v195
	v_add_f32_e32 v17, v17, v18
	v_fmac_f32_e32 v188, 0x3e9e377a, v14
	s_delay_alu instid0(VALU_DEP_3) | instskip(NEXT) | instid1(VALU_DEP_1)
	v_fmac_f32_e32 v7, 0x3f167918, v194
	v_dual_fmac_f32 v6, 0x3e9e377a, v14 :: v_dual_fmac_f32 v7, 0x3e9e377a, v17
	ds_store_2addr_b64 v3, v[8:9], v[6:7] offset0:15 offset1:32
	v_dual_add_f32 v6, v207, v252 :: v_dual_add_f32 v7, v208, v223
	v_dual_add_f32 v8, v196, v224 :: v_dual_add_f32 v9, v197, v225
	s_delay_alu instid0(VALU_DEP_2) | instskip(NEXT) | instid1(VALU_DEP_2)
	v_dual_add_f32 v6, v6, v220 :: v_dual_add_f32 v7, v7, v221
	v_dual_add_f32 v8, v8, v226 :: v_dual_add_f32 v9, v9, v231
	s_delay_alu instid0(VALU_DEP_2) | instskip(NEXT) | instid1(VALU_DEP_2)
	v_dual_add_f32 v6, v6, v21 :: v_dual_add_f32 v7, v7, v22
	v_dual_add_f32 v8, v8, v23 :: v_dual_add_f32 v9, v9, v192
	v_fmac_f32_e32 v189, 0xbf167918, v194
	ds_store_2addr_b64 v255, v[6:7], v[8:9] offset0:68 offset1:85
	v_dual_sub_f32 v6, v222, v224 :: v_dual_sub_f32 v7, v23, v226
	v_sub_f32_e32 v8, v251, v225
	s_delay_alu instid0(VALU_DEP_2) | instskip(SKIP_3) | instid1(VALU_DEP_3)
	v_add_f32_e32 v14, v6, v7
	v_dual_fmamk_f32 v6, v201, 0x3f737871, v184 :: v_dual_sub_f32 v9, v192, v231
	v_dual_fmamk_f32 v7, v204, 0xbf737871, v185 :: v_dual_fmac_f32 v184, 0xbf737871, v201
	v_fmac_f32_e32 v185, 0x3f737871, v204
	v_fmac_f32_e32 v6, 0x3f167918, v200
	s_delay_alu instid0(VALU_DEP_3) | instskip(SKIP_2) | instid1(VALU_DEP_3)
	v_dual_add_f32 v8, v8, v9 :: v_dual_fmac_f32 v7, 0xbf167918, v202
	v_fmac_f32_e32 v189, 0x3e9e377a, v17
	v_fmac_f32_e32 v184, 0xbf167918, v200
	v_dual_fmac_f32 v6, 0x3e9e377a, v14 :: v_dual_fmac_f32 v7, 0x3e9e377a, v8
	ds_store_2addr_b64 v255, v[188:189], v[6:7] offset0:187 offset1:204
	v_dual_sub_f32 v6, v215, v4 :: v_dual_sub_f32 v7, v12, v203
	v_add_f32_e32 v4, v216, v4
	v_fmac_f32_e32 v187, 0xbf167918, v204
	s_delay_alu instid0(VALU_DEP_3) | instskip(SKIP_1) | instid1(VALU_DEP_4)
	v_dual_add_f32 v9, v6, v7 :: v_dual_sub_f32 v6, v213, v5
	v_sub_f32_e32 v7, v13, v233
	v_dual_add_f32 v5, v214, v5 :: v_dual_add_f32 v4, v4, v203
	v_fmac_f32_e32 v185, 0x3f167918, v202
	v_fmac_f32_e32 v187, 0x3e9e377a, v16
	s_delay_alu instid0(VALU_DEP_4) | instskip(SKIP_4) | instid1(VALU_DEP_4)
	v_add_f32_e32 v17, v6, v7
	v_fmamk_f32 v6, v242, 0x3f737871, v10
	v_dual_fmamk_f32 v7, v243, 0xbf737871, v11 :: v_dual_fmac_f32 v10, 0xbf737871, v242
	v_fmac_f32_e32 v11, 0x3f737871, v243
	v_fmac_f32_e32 v199, 0xbf167918, v243
	;; [unrolled: 1-line block ×3, first 2 shown]
	s_delay_alu instid0(VALU_DEP_4) | instskip(NEXT) | instid1(VALU_DEP_4)
	v_dual_fmac_f32 v7, 0xbf167918, v241 :: v_dual_fmac_f32 v10, 0xbf167918, v240
	v_fmac_f32_e32 v11, 0x3f167918, v241
	v_add_f32_e32 v5, v5, v233
	s_delay_alu instid0(VALU_DEP_4) | instskip(NEXT) | instid1(VALU_DEP_4)
	v_dual_fmac_f32 v205, 0x3e9e377a, v232 :: v_dual_fmac_f32 v6, 0x3e9e377a, v9
	v_fmac_f32_e32 v7, 0x3e9e377a, v17
	v_dual_fmac_f32 v199, 0x3e9e377a, v234 :: v_dual_fmac_f32 v10, 0x3e9e377a, v9
	v_dual_fmac_f32 v11, 0x3e9e377a, v17 :: v_dual_add_f32 v4, v4, v12
	v_dual_fmac_f32 v184, 0x3e9e377a, v14 :: v_dual_fmac_f32 v185, 0x3e9e377a, v8
	v_add_f32_e32 v5, v5, v13
	ds_store_2addr_b64 v190, v[6:7], v[205:206] offset0:93 offset1:144
	ds_store_2addr_b64 v2, v[186:187], v[198:199] offset0:67 offset1:84
	;; [unrolled: 1-line block ×3, first 2 shown]
	ds_store_b64 v255, v[4:5] offset:816
	global_wb scope:SCOPE_SE
	s_wait_storecnt_dscnt 0x0
	s_barrier_signal -1
	s_barrier_wait -1
	global_inv scope:SCOPE_SE
	scratch_load_b64 v[4:5], off, off offset:332 th:TH_LOAD_LU ; 8-byte Folded Reload
	ds_load_2addr_b64 v[184:187], v255 offset1:17
	s_wait_loadcnt 0x0
	global_load_b64 v[4:5], v[4:5], off offset:4760
	s_wait_loadcnt_dscnt 0x0
	v_mul_f32_e32 v6, v185, v5
	v_mul_f32_e32 v189, v184, v5
	s_delay_alu instid0(VALU_DEP_2) | instskip(NEXT) | instid1(VALU_DEP_2)
	v_fma_f32 v188, v184, v4, -v6
	v_fmac_f32_e32 v189, v185, v4
	v_lshlrev_b32_e32 v4, 3, v24
	s_clause 0x3
	global_load_b64 v[5:6], v4, s[4:5] offset:136
	global_load_b64 v[9:10], v4, s[4:5] offset:272
	;; [unrolled: 1-line block ×4, first 2 shown]
	s_wait_loadcnt 0x3
	v_mul_f32_e32 v7, v187, v6
	v_mul_f32_e32 v195, v186, v6
	s_delay_alu instid0(VALU_DEP_2) | instskip(NEXT) | instid1(VALU_DEP_2)
	v_fma_f32 v194, v186, v5, -v7
	v_fmac_f32_e32 v195, v187, v5
	s_clause 0x3
	global_load_b64 v[186:187], v4, s[4:5] offset:1360
	global_load_b64 v[196:197], v4, s[4:5] offset:1496
	global_load_b64 v[198:199], v4, s[4:5] offset:1632
	global_load_b64 v[205:206], v4, s[4:5] offset:1224
	ds_load_2addr_b64 v[5:8], v255 offset0:170 offset1:187
	s_wait_loadcnt_dscnt 0x300
	v_mul_f32_e32 v11, v6, v187
	s_wait_loadcnt 0x2
	v_dual_mul_f32 v208, v5, v187 :: v_dual_mul_f32 v187, v7, v197
	s_delay_alu instid0(VALU_DEP_2) | instskip(NEXT) | instid1(VALU_DEP_2)
	v_fma_f32 v207, v5, v186, -v11
	v_dual_mul_f32 v5, v8, v197 :: v_dual_fmac_f32 v208, v6, v186
	s_delay_alu instid0(VALU_DEP_3) | instskip(NEXT) | instid1(VALU_DEP_2)
	v_fmac_f32_e32 v187, v8, v196
	v_fma_f32 v186, v7, v196, -v5
	s_clause 0x1
	global_load_b64 v[196:197], v4, s[4:5] offset:2720
	global_load_b64 v[209:210], v4, s[4:5] offset:2584
	ds_load_2addr_b64 v[5:8], v2 offset0:84 offset1:101
	s_wait_loadcnt_dscnt 0x100
	v_mul_f32_e32 v11, v6, v197
	v_mul_f32_e32 v212, v5, v197
	s_delay_alu instid0(VALU_DEP_2) | instskip(NEXT) | instid1(VALU_DEP_2)
	v_fma_f32 v211, v5, v196, -v11
	v_fmac_f32_e32 v212, v6, v196
	s_clause 0x7
	global_load_b64 v[5:6], v4, s[4:5] offset:2856
	global_load_b64 v[196:197], v4, s[4:5] offset:2992
	;; [unrolled: 1-line block ×8, first 2 shown]
	s_wait_loadcnt 0x7
	v_mul_f32_e32 v11, v8, v6
	v_mul_f32_e32 v218, v7, v6
	s_delay_alu instid0(VALU_DEP_2) | instskip(NEXT) | instid1(VALU_DEP_2)
	v_fma_f32 v217, v7, v5, -v11
	v_fmac_f32_e32 v218, v8, v5
	ds_load_2addr_b64 v[5:8], v191 offset0:126 offset1:143
	s_wait_loadcnt_dscnt 0x300
	v_mul_f32_e32 v11, v6, v220
	v_mul_f32_e32 v228, v5, v220
	s_wait_loadcnt 0x2
	v_mul_f32_e32 v220, v7, v222
	s_delay_alu instid0(VALU_DEP_3) | instskip(NEXT) | instid1(VALU_DEP_3)
	v_fma_f32 v227, v5, v219, -v11
	v_dual_mul_f32 v5, v8, v222 :: v_dual_fmac_f32 v228, v6, v219
	s_delay_alu instid0(VALU_DEP_3) | instskip(NEXT) | instid1(VALU_DEP_2)
	v_fmac_f32_e32 v220, v8, v221
	v_fma_f32 v219, v7, v221, -v5
	s_clause 0x3
	global_load_b64 v[221:222], v4, s[4:5] offset:816
	global_load_b64 v[229:230], v4, s[4:5] offset:952
	;; [unrolled: 1-line block ×4, first 2 shown]
	ds_load_2addr_b64 v[5:8], v255 offset0:102 offset1:119
	s_wait_loadcnt_dscnt 0x300
	v_mul_f32_e32 v11, v6, v222
	v_mul_f32_e32 v236, v5, v222
	s_wait_loadcnt 0x2
	v_mul_f32_e32 v222, v7, v230
	s_delay_alu instid0(VALU_DEP_3) | instskip(NEXT) | instid1(VALU_DEP_3)
	v_fma_f32 v235, v5, v221, -v11
	v_dual_mul_f32 v5, v8, v230 :: v_dual_fmac_f32 v236, v6, v221
	s_delay_alu instid0(VALU_DEP_3) | instskip(NEXT) | instid1(VALU_DEP_2)
	v_fmac_f32_e32 v222, v8, v229
	v_fma_f32 v221, v7, v229, -v5
	s_clause 0x1
	global_load_b64 v[229:230], v4, s[4:5] offset:2176
	global_load_b64 v[237:238], v4, s[4:5] offset:2040
	ds_load_2addr_b64 v[5:8], v2 offset0:16 offset1:33
	s_wait_loadcnt_dscnt 0x100
	v_mul_f32_e32 v11, v6, v230
	v_mul_f32_e32 v240, v5, v230
	s_delay_alu instid0(VALU_DEP_2) | instskip(NEXT) | instid1(VALU_DEP_2)
	v_fma_f32 v239, v5, v229, -v11
	v_fmac_f32_e32 v240, v6, v229
	s_clause 0x5
	global_load_b64 v[5:6], v4, s[4:5] offset:2312
	global_load_b64 v[229:230], v4, s[4:5] offset:2448
	;; [unrolled: 1-line block ×6, first 2 shown]
	s_wait_loadcnt 0x5
	v_mul_f32_e32 v11, v8, v6
	v_mul_f32_e32 v242, v7, v6
	s_delay_alu instid0(VALU_DEP_2) | instskip(NEXT) | instid1(VALU_DEP_2)
	v_fma_f32 v241, v7, v5, -v11
	v_fmac_f32_e32 v242, v8, v5
	ds_load_2addr_b64 v[5:8], v2 offset0:186 offset1:203
	s_wait_loadcnt_dscnt 0x300
	v_mul_f32_e32 v11, v6, v244
	v_mul_f32_e32 v252, v5, v244
	s_wait_loadcnt 0x2
	v_mul_f32_e32 v244, v7, v246
	s_delay_alu instid0(VALU_DEP_3) | instskip(NEXT) | instid1(VALU_DEP_3)
	v_fma_f32 v251, v5, v243, -v11
	v_dual_mul_f32 v5, v8, v246 :: v_dual_fmac_f32 v252, v6, v243
	s_delay_alu instid0(VALU_DEP_3) | instskip(NEXT) | instid1(VALU_DEP_2)
	v_fmac_f32_e32 v244, v8, v245
	v_fma_f32 v243, v7, v245, -v5
	ds_load_2addr_b64 v[5:8], v255 offset0:34 offset1:51
	s_wait_dscnt 0x0
	v_mul_f32_e32 v11, v6, v10
	v_mul_f32_e32 v246, v5, v10
	;; [unrolled: 1-line block ×3, first 2 shown]
	s_delay_alu instid0(VALU_DEP_3) | instskip(SKIP_1) | instid1(VALU_DEP_4)
	v_fma_f32 v245, v5, v9, -v11
	v_mul_f32_e32 v5, v8, v185
	v_fmac_f32_e32 v246, v6, v9
	s_delay_alu instid0(VALU_DEP_4) | instskip(NEXT) | instid1(VALU_DEP_3)
	v_fmac_f32_e32 v10, v8, v184
	v_fma_f32 v9, v7, v184, -v5
	ds_load_2addr_b64 v[5:8], v255 offset0:204 offset1:221
	s_wait_dscnt 0x0
	v_mul_f32_e32 v185, v5, v199
	v_mul_f32_e32 v11, v6, v199
	s_delay_alu instid0(VALU_DEP_2) | instskip(NEXT) | instid1(VALU_DEP_2)
	v_fmac_f32_e32 v185, v6, v198
	v_fma_f32 v184, v5, v198, -v11
	s_clause 0x1
	global_load_b64 v[5:6], v4, s[4:5] offset:1768
	global_load_b64 v[198:199], v4, s[4:5] offset:1904
	s_wait_loadcnt 0x1
	v_mul_f32_e32 v11, v8, v6
	v_mul_f32_e32 v201, v7, v6
	s_delay_alu instid0(VALU_DEP_2) | instskip(NEXT) | instid1(VALU_DEP_2)
	v_fma_f32 v200, v7, v5, -v11
	v_fmac_f32_e32 v201, v8, v5
	ds_load_2addr_b64 v[5:8], v2 offset0:118 offset1:135
	s_wait_dscnt 0x0
	v_mul_f32_e32 v11, v6, v197
	v_mul_f32_e32 v203, v5, v197
	;; [unrolled: 1-line block ×3, first 2 shown]
	s_delay_alu instid0(VALU_DEP_3) | instskip(SKIP_1) | instid1(VALU_DEP_4)
	v_fma_f32 v202, v5, v196, -v11
	v_mul_f32_e32 v5, v8, v214
	v_fmac_f32_e32 v203, v6, v196
	s_delay_alu instid0(VALU_DEP_4) | instskip(NEXT) | instid1(VALU_DEP_3)
	v_fmac_f32_e32 v197, v8, v213
	v_fma_f32 v196, v7, v213, -v5
	ds_load_2addr_b64 v[5:8], v3 offset0:32 offset1:49
	s_wait_dscnt 0x0
	v_mul_f32_e32 v11, v6, v224
	v_mul_f32_e32 v214, v5, v224
	s_delay_alu instid0(VALU_DEP_2) | instskip(NEXT) | instid1(VALU_DEP_2)
	v_fma_f32 v213, v5, v223, -v11
	v_fmac_f32_e32 v214, v6, v223
	s_clause 0x1
	global_load_b64 v[5:6], v4, s[4:5] offset:4488
	global_load_b64 v[223:224], v4, s[4:5] offset:4624
	s_wait_loadcnt 0x1
	v_mul_f32_e32 v4, v8, v6
	v_mul_f32_e32 v12, v7, v6
	s_delay_alu instid0(VALU_DEP_2) | instskip(NEXT) | instid1(VALU_DEP_2)
	v_fma_f32 v11, v7, v5, -v4
	v_fmac_f32_e32 v12, v8, v5
	ds_load_2addr_b64 v[4:7], v255 offset0:68 offset1:85
	s_wait_dscnt 0x0
	v_mul_f32_e32 v8, v7, v234
	v_mul_f32_e32 v14, v6, v234
	;; [unrolled: 1-line block ×3, first 2 shown]
	s_delay_alu instid0(VALU_DEP_3) | instskip(SKIP_1) | instid1(VALU_DEP_4)
	v_fma_f32 v13, v6, v233, -v8
	v_mul_f32_e32 v6, v5, v193
	v_fmac_f32_e32 v14, v7, v233
	s_delay_alu instid0(VALU_DEP_4) | instskip(NEXT) | instid1(VALU_DEP_3)
	v_fmac_f32_e32 v234, v5, v192
	v_fma_f32 v233, v4, v192, -v6
	ds_load_2addr_b64 v[4:7], v255 offset0:136 offset1:153
	s_wait_dscnt 0x0
	v_mul_f32_e32 v8, v5, v232
	v_dual_mul_f32 v193, v4, v232 :: v_dual_mul_f32 v232, v6, v206
	s_delay_alu instid0(VALU_DEP_2) | instskip(NEXT) | instid1(VALU_DEP_2)
	v_fma_f32 v192, v4, v231, -v8
	v_dual_mul_f32 v4, v7, v206 :: v_dual_fmac_f32 v193, v5, v231
	s_delay_alu instid0(VALU_DEP_3) | instskip(NEXT) | instid1(VALU_DEP_2)
	v_fmac_f32_e32 v232, v7, v205
	v_fma_f32 v231, v6, v205, -v4
	ds_load_2addr_b64 v[4:7], v255 offset0:238 offset1:255
	s_wait_dscnt 0x0
	v_mul_f32_e32 v8, v7, v238
	v_mul_f32_e32 v206, v6, v238
	;; [unrolled: 1-line block ×3, first 2 shown]
	s_delay_alu instid0(VALU_DEP_3) | instskip(SKIP_1) | instid1(VALU_DEP_4)
	v_fma_f32 v205, v6, v237, -v8
	v_mul_f32_e32 v6, v5, v199
	v_fmac_f32_e32 v206, v7, v237
	s_delay_alu instid0(VALU_DEP_4) | instskip(NEXT) | instid1(VALU_DEP_3)
	v_fmac_f32_e32 v238, v5, v198
	v_fma_f32 v237, v4, v198, -v6
	ds_load_2addr_b64 v[4:7], v2 offset0:50 offset1:67
	s_wait_dscnt 0x0
	v_mul_f32_e32 v8, v5, v230
	v_mul_f32_e32 v199, v4, v230
	;; [unrolled: 1-line block ×3, first 2 shown]
	s_delay_alu instid0(VALU_DEP_3) | instskip(NEXT) | instid1(VALU_DEP_3)
	v_fma_f32 v198, v4, v229, -v8
	v_dual_mul_f32 v4, v7, v210 :: v_dual_fmac_f32 v199, v5, v229
	s_delay_alu instid0(VALU_DEP_3) | instskip(NEXT) | instid1(VALU_DEP_2)
	v_fmac_f32_e32 v230, v7, v209
	v_fma_f32 v229, v6, v209, -v4
	ds_load_2addr_b64 v[4:7], v2 offset0:152 offset1:169
	s_wait_dscnt 0x0
	v_mul_f32_e32 v8, v7, v250
	v_mul_f32_e32 v210, v6, v250
	;; [unrolled: 1-line block ×3, first 2 shown]
	s_delay_alu instid0(VALU_DEP_3) | instskip(SKIP_1) | instid1(VALU_DEP_4)
	v_fma_f32 v209, v6, v249, -v8
	v_mul_f32_e32 v6, v5, v216
	v_fmac_f32_e32 v210, v7, v249
	s_delay_alu instid0(VALU_DEP_4) | instskip(NEXT) | instid1(VALU_DEP_3)
	v_fmac_f32_e32 v250, v5, v215
	v_fma_f32 v249, v4, v215, -v6
	ds_load_2addr_b64 v[4:7], v2 offset0:220 offset1:237
	ds_store_2addr_b64 v255, v[188:189], v[194:195] offset1:17
	ds_store_2addr_b64 v255, v[207:208], v[186:187] offset0:170 offset1:187
	ds_store_2addr_b64 v2, v[211:212], v[217:218] offset0:84 offset1:101
	ds_store_2addr_b64 v191, v[227:228], v[219:220] offset0:126 offset1:143
	ds_store_2addr_b64 v255, v[235:236], v[221:222] offset0:102 offset1:119
	ds_store_2addr_b64 v2, v[239:240], v[241:242] offset0:16 offset1:33
	ds_store_2addr_b64 v2, v[251:252], v[243:244] offset0:186 offset1:203
	ds_store_2addr_b64 v255, v[245:246], v[9:10] offset0:34 offset1:51
	ds_store_2addr_b64 v255, v[184:185], v[200:201] offset0:204 offset1:221
	ds_store_2addr_b64 v2, v[202:203], v[196:197] offset0:118 offset1:135
	ds_store_2addr_b64 v3, v[213:214], v[11:12] offset0:32 offset1:49
	ds_store_2addr_b64 v255, v[233:234], v[13:14] offset0:68 offset1:85
	ds_store_2addr_b64 v255, v[192:193], v[231:232] offset0:136 offset1:153
	s_wait_dscnt 0xd
	v_mul_f32_e32 v8, v5, v248
	v_mul_f32_e32 v216, v4, v248
	s_delay_alu instid0(VALU_DEP_2) | instskip(NEXT) | instid1(VALU_DEP_2)
	v_fma_f32 v215, v4, v247, -v8
	v_fmac_f32_e32 v216, v5, v247
	v_mul_f32_e32 v4, v7, v226
	v_mul_f32_e32 v5, v6, v226
	s_delay_alu instid0(VALU_DEP_2) | instskip(NEXT) | instid1(VALU_DEP_2)
	v_fma_f32 v4, v6, v225, -v4
	v_fmac_f32_e32 v5, v7, v225
	ds_load_b64 v[6:7], v255 offset:4624
	s_wait_loadcnt_dscnt 0x0
	v_mul_f32_e32 v8, v7, v224
	v_mul_f32_e32 v9, v6, v224
	s_delay_alu instid0(VALU_DEP_2) | instskip(NEXT) | instid1(VALU_DEP_2)
	v_fma_f32 v8, v6, v223, -v8
	v_fmac_f32_e32 v9, v7, v223
	ds_store_2addr_b64 v255, v[237:238], v[205:206] offset0:238 offset1:255
	ds_store_2addr_b64 v2, v[198:199], v[229:230] offset0:50 offset1:67
	ds_store_2addr_b64 v2, v[249:250], v[209:210] offset0:152 offset1:169
	ds_store_2addr_b64 v2, v[215:216], v[4:5] offset0:220 offset1:237
	ds_store_b64 v255, v[8:9] offset:4624
	global_wb scope:SCOPE_SE
	s_wait_dscnt 0x0
	s_barrier_signal -1
	s_barrier_wait -1
	global_inv scope:SCOPE_SE
	ds_load_2addr_b64 v[4:7], v255 offset0:170 offset1:187
	ds_load_2addr_b64 v[184:187], v2 offset0:152 offset1:169
	;; [unrolled: 1-line block ×5, first 2 shown]
	s_wait_dscnt 0x3
	v_dual_add_f32 v215, v4, v186 :: v_dual_add_f32 v214, v5, v187
	v_sub_f32_e32 v211, v4, v186
	v_sub_f32_e32 v209, v5, v187
	s_wait_dscnt 0x2
	v_add_f32_e32 v205, v6, v8
	v_dual_add_f32 v199, v7, v9 :: v_dual_sub_f32 v198, v6, v8
	v_sub_f32_e32 v197, v7, v9
	ds_load_2addr_b64 v[4:7], v255 offset0:204 offset1:221
	s_wait_dscnt 0x0
	v_dual_add_f32 v196, v4, v10 :: v_dual_add_f32 v195, v5, v11
	v_dual_sub_f32 v194, v4, v10 :: v_dual_sub_f32 v193, v5, v11
	v_add_f32_e32 v188, v6, v216
	v_dual_add_f32 v10, v7, v217 :: v_dual_sub_f32 v9, v6, v216
	v_dual_sub_f32 v8, v7, v217 :: v_dual_add_f32 v7, v220, v218
	v_dual_add_f32 v6, v221, v219 :: v_dual_sub_f32 v5, v220, v218
	v_sub_f32_e32 v4, v221, v219
	ds_load_2addr_b64 v[216:219], v2 offset0:84 offset1:101
	s_wait_dscnt 0x0
	v_dual_add_f32 v16, v222, v216 :: v_dual_add_f32 v17, v223, v217
	v_dual_sub_f32 v18, v216, v222 :: v_dual_sub_f32 v19, v217, v223
	ds_load_2addr_b64 v[220:223], v2 offset0:16 offset1:33
	s_wait_dscnt 0x0
	v_dual_add_f32 v20, v220, v218 :: v_dual_add_f32 v21, v221, v219
	v_dual_sub_f32 v22, v218, v220 :: v_dual_sub_f32 v23, v219, v221
	;; [unrolled: 4-line block ×3, first 2 shown]
	ds_load_2addr_b64 v[221:224], v2 offset0:50 offset1:67
	s_wait_dscnt 0x0
	v_add_f32_e32 v242, v221, v219
	v_dual_add_f32 v218, v222, v220 :: v_dual_sub_f32 v217, v219, v221
	v_sub_f32_e32 v216, v220, v222
	v_add_f32_e32 v206, v223, v184
	v_add_f32_e32 v192, v224, v185
	v_sub_f32_e32 v189, v184, v223
	v_sub_f32_e32 v11, v185, v224
	ds_load_2addr_b64 v[219:222], v191 offset0:126 offset1:143
	ds_load_2addr_b64 v[223:226], v255 offset0:68 offset1:85
	;; [unrolled: 1-line block ×5, first 2 shown]
	ds_load_2addr_b64 v[184:187], v255 offset1:17
	s_wait_dscnt 0x4
	v_dual_add_f32 v202, v225, v219 :: v_dual_add_f32 v243, v226, v220
	s_wait_dscnt 0x3
	v_add_f32_e32 v245, v227, v221
	v_sub_f32_e32 v221, v227, v221
	s_wait_dscnt 0x2
	v_dual_add_f32 v249, v229, v231 :: v_dual_add_f32 v12, v215, v202
	v_sub_f32_e32 v219, v225, v219
	v_sub_f32_e32 v229, v229, v231
	v_add_f32_e32 v247, v228, v222
	s_wait_dscnt 0x1
	v_add_f32_e32 v253, v235, v233
	v_dual_add_f32 v203, v16, v12 :: v_dual_add_f32 v12, v214, v243
	v_add_f32_e32 v251, v230, v232
	v_dual_sub_f32 v220, v226, v220 :: v_dual_sub_f32 v27, v235, v233
	s_delay_alu instid0(VALU_DEP_3) | instskip(SKIP_3) | instid1(VALU_DEP_3)
	v_dual_sub_f32 v233, v236, v234 :: v_dual_add_f32 v244, v17, v12
	v_add_f32_e32 v12, v205, v245
	v_dual_sub_f32 v226, v19, v209 :: v_dual_add_f32 v25, v236, v234
	s_wait_dscnt 0x0
	v_add_f32_e32 v13, v185, v244
	s_delay_alu instid0(VALU_DEP_3) | instskip(SKIP_2) | instid1(VALU_DEP_3)
	v_add_f32_e32 v246, v20, v12
	v_add_f32_e32 v12, v199, v247
	v_sub_f32_e32 v225, v18, v211
	v_add_f32_e32 v14, v186, v246
	s_delay_alu instid0(VALU_DEP_3) | instskip(SKIP_1) | instid1(VALU_DEP_2)
	v_add_f32_e32 v248, v21, v12
	v_add_f32_e32 v12, v184, v203
	v_dual_add_f32 v184, v196, v249 :: v_dual_add_f32 v15, v187, v248
	s_delay_alu instid0(VALU_DEP_1) | instskip(SKIP_1) | instid1(VALU_DEP_1)
	v_add_f32_e32 v250, v204, v184
	v_add_f32_e32 v184, v195, v251
	;; [unrolled: 1-line block ×4, first 2 shown]
	s_delay_alu instid0(VALU_DEP_1)
	v_add_f32_e32 v24, v242, v184
	ds_load_2addr_b64 v[184:187], v255 offset0:34 offset1:51
	s_wait_dscnt 0x0
	v_dual_add_f32 v200, v184, v250 :: v_dual_add_f32 v201, v185, v252
	ds_load_b64 v[184:185], v255 offset:4624
	global_wb scope:SCOPE_SE
	s_wait_dscnt 0x0
	s_barrier_signal -1
	s_barrier_wait -1
	global_inv scope:SCOPE_SE
	v_dual_add_f32 v213, v237, v184 :: v_dual_add_f32 v212, v238, v185
	v_dual_sub_f32 v210, v237, v184 :: v_dual_sub_f32 v191, v238, v185
	s_delay_alu instid0(VALU_DEP_2) | instskip(NEXT) | instid1(VALU_DEP_1)
	v_add_f32_e32 v184, v7, v213
	v_add_f32_e32 v208, v206, v184
	s_delay_alu instid0(VALU_DEP_4) | instskip(NEXT) | instid1(VALU_DEP_1)
	v_add_f32_e32 v184, v6, v212
	v_add_f32_e32 v207, v192, v184
	s_delay_alu instid0(VALU_DEP_3) | instskip(SKIP_1) | instid1(VALU_DEP_3)
	v_add_f32_e32 v184, v223, v208
	v_sub_f32_e32 v223, v202, v16
	v_add_f32_e32 v185, v224, v207
	v_add_f32_e32 v224, v18, v211
	v_sub_f32_e32 v18, v219, v18
	v_dual_sub_f32 v211, v211, v219 :: v_dual_add_f32 v26, v10, v25
	s_delay_alu instid0(VALU_DEP_3)
	v_add_f32_e32 v224, v224, v219
	v_dual_sub_f32 v16, v16, v215 :: v_dual_add_f32 v219, v19, v209
	v_sub_f32_e32 v202, v215, v202
	v_sub_f32_e32 v215, v243, v17
	;; [unrolled: 1-line block ×4, first 2 shown]
	v_add_f32_e32 v219, v219, v220
	v_dual_sub_f32 v209, v209, v220 :: v_dual_mul_f32 v220, 0x3f4a47b2, v223
	v_dual_mul_f32 v223, 0x3d64c772, v16 :: v_dual_sub_f32 v214, v214, v243
	v_mul_f32_e32 v215, 0x3f4a47b2, v215
	v_fmamk_f32 v203, v203, 0xbf955555, v12
	s_delay_alu instid0(VALU_DEP_4) | instskip(NEXT) | instid1(VALU_DEP_4)
	v_fmamk_f32 v16, v16, 0x3d64c772, v220
	v_fma_f32 v223, 0x3f3bfb3b, v202, -v223
	v_fma_f32 v202, 0xbf3bfb3b, v202, -v220
	v_dual_mul_f32 v220, 0x3d64c772, v17 :: v_dual_fmamk_f32 v17, v17, 0x3d64c772, v215
	v_add_f32_e32 v186, v186, v24
	v_sub_f32_e32 v222, v228, v222
	v_add_f32_e32 v16, v16, v203
	s_delay_alu instid0(VALU_DEP_4) | instskip(SKIP_4) | instid1(VALU_DEP_3)
	v_fma_f32 v220, 0x3f3bfb3b, v214, -v220
	v_fma_f32 v214, 0xbf3bfb3b, v214, -v215
	v_mul_f32_e32 v215, 0x3f08b237, v225
	v_dual_mul_f32 v225, 0xbf5ff5aa, v211 :: v_dual_add_f32 v26, v218, v26
	v_dual_sub_f32 v230, v230, v232 :: v_dual_add_f32 v223, v223, v203
	v_fma_f32 v211, 0xbf5ff5aa, v211, -v215
	v_fmamk_f32 v227, v18, 0xbeae86e6, v215
	s_delay_alu instid0(VALU_DEP_4)
	v_fma_f32 v18, 0x3eae86e6, v18, -v225
	v_mul_f32_e32 v215, 0x3f08b237, v226
	v_mul_f32_e32 v225, 0xbf5ff5aa, v209
	v_fmac_f32_e32 v211, 0xbee1c552, v224
	v_fmac_f32_e32 v227, 0xbee1c552, v224
	v_add_f32_e32 v187, v187, v26
	v_fmamk_f32 v226, v19, 0xbeae86e6, v215
	v_fma_f32 v19, 0x3eae86e6, v19, -v225
	v_dual_add_f32 v225, v202, v203 :: v_dual_fmac_f32 v18, 0xbee1c552, v224
	scratch_load_b32 v224, off, off offset:316 th:TH_LOAD_LU ; 4-byte Folded Reload
	v_fmamk_f32 v202, v244, 0xbf955555, v13
	v_fma_f32 v209, 0xbf5ff5aa, v209, -v215
	v_fmac_f32_e32 v226, 0xbee1c552, v219
	v_fmac_f32_e32 v19, 0xbee1c552, v219
	s_delay_alu instid0(VALU_DEP_4) | instskip(SKIP_3) | instid1(VALU_DEP_4)
	v_add_f32_e32 v17, v17, v202
	v_add_f32_e32 v228, v220, v202
	;; [unrolled: 1-line block ×3, first 2 shown]
	v_dual_fmac_f32 v209, 0xbee1c552, v219 :: v_dual_add_f32 v202, v16, v226
	v_dual_sub_f32 v203, v17, v227 :: v_dual_add_f32 v214, v19, v225
	s_delay_alu instid0(VALU_DEP_3) | instskip(NEXT) | instid1(VALU_DEP_3)
	v_sub_f32_e32 v215, v231, v18
	v_sub_f32_e32 v219, v223, v209
	v_add_f32_e32 v220, v211, v228
	s_wait_loadcnt 0x0
	ds_store_2addr_b64 v224, v[12:13], v[202:203] offset1:1
	ds_store_2addr_b64 v224, v[214:215], v[219:220] offset0:2 offset1:3
	v_sub_f32_e32 v202, v225, v19
	v_add_f32_e32 v203, v18, v231
	v_sub_f32_e32 v18, v21, v199
	v_sub_f32_e32 v19, v199, v247
	v_dual_add_f32 v199, v23, v197 :: v_dual_add_f32 v12, v209, v223
	v_sub_f32_e32 v13, v228, v211
	v_add_f32_e32 v215, v227, v17
	v_sub_f32_e32 v17, v247, v21
	s_delay_alu instid0(VALU_DEP_4)
	v_add_f32_e32 v199, v199, v222
	v_sub_f32_e32 v214, v16, v226
	ds_store_2addr_b64 v224, v[12:13], v[202:203] offset0:4 offset1:5
	ds_store_b64 v224, v[214:215] offset:48
	v_dual_sub_f32 v12, v245, v20 :: v_dual_sub_f32 v13, v20, v205
	v_dual_sub_f32 v16, v205, v245 :: v_dual_sub_f32 v21, v22, v198
	s_delay_alu instid0(VALU_DEP_2) | instskip(NEXT) | instid1(VALU_DEP_3)
	v_mul_f32_e32 v12, 0x3f4a47b2, v12
	v_mul_f32_e32 v203, 0x3d64c772, v13
	s_delay_alu instid0(VALU_DEP_2) | instskip(NEXT) | instid1(VALU_DEP_2)
	v_fmamk_f32 v13, v13, 0x3d64c772, v12
	v_fma_f32 v203, 0x3f3bfb3b, v16, -v203
	v_fma_f32 v12, 0xbf3bfb3b, v16, -v12
	v_mul_f32_e32 v16, 0x3f4a47b2, v17
	v_mul_f32_e32 v17, 0x3d64c772, v18
	v_add_f32_e32 v20, v22, v198
	v_sub_f32_e32 v198, v198, v221
	v_sub_f32_e32 v22, v221, v22
	v_fmamk_f32 v18, v18, 0x3d64c772, v16
	v_fma_f32 v17, 0x3f3bfb3b, v19, -v17
	v_fma_f32 v16, 0xbf3bfb3b, v19, -v16
	v_mul_f32_e32 v19, 0x3f08b237, v21
	v_mul_f32_e32 v21, 0xbf5ff5aa, v198
	s_delay_alu instid0(VALU_DEP_2) | instskip(SKIP_4) | instid1(VALU_DEP_4)
	v_fma_f32 v205, 0xbf5ff5aa, v198, -v19
	v_dual_sub_f32 v202, v23, v197 :: v_dual_sub_f32 v23, v222, v23
	v_sub_f32_e32 v197, v197, v222
	v_fmamk_f32 v19, v22, 0xbeae86e6, v19
	v_fma_f32 v21, 0x3eae86e6, v22, -v21
	v_mul_f32_e32 v22, 0x3f08b237, v202
	s_delay_alu instid0(VALU_DEP_4) | instskip(NEXT) | instid1(VALU_DEP_2)
	v_mul_f32_e32 v198, 0xbf5ff5aa, v197
	v_fma_f32 v209, 0xbf5ff5aa, v197, -v22
	v_fmamk_f32 v22, v23, 0xbeae86e6, v22
	v_fmamk_f32 v197, v246, 0xbf955555, v14
	s_delay_alu instid0(VALU_DEP_4) | instskip(NEXT) | instid1(VALU_DEP_4)
	v_fma_f32 v23, 0x3eae86e6, v23, -v198
	v_fmac_f32_e32 v209, 0xbee1c552, v199
	s_delay_alu instid0(VALU_DEP_3) | instskip(SKIP_4) | instid1(VALU_DEP_3)
	v_dual_fmac_f32 v22, 0xbee1c552, v199 :: v_dual_add_f32 v211, v13, v197
	v_add_f32_e32 v215, v12, v197
	v_fmamk_f32 v12, v248, 0xbf955555, v15
	v_add_f32_e32 v20, v20, v221
	v_dual_add_f32 v214, v203, v197 :: v_dual_fmac_f32 v23, 0xbee1c552, v199
	v_add_f32_e32 v17, v17, v12
	s_delay_alu instid0(VALU_DEP_3)
	v_fmac_f32_e32 v19, 0xbee1c552, v20
	v_fmac_f32_e32 v21, 0xbee1c552, v20
	;; [unrolled: 1-line block ×3, first 2 shown]
	scratch_load_b32 v20, off, off offset:312 th:TH_LOAD_LU ; 4-byte Folded Reload
	v_dual_add_f32 v16, v16, v12 :: v_dual_add_f32 v197, v23, v215
	v_sub_f32_e32 v202, v214, v209
	v_dual_add_f32 v203, v205, v17 :: v_dual_add_f32 v18, v18, v12
	v_add_f32_e32 v12, v211, v22
	s_delay_alu instid0(VALU_DEP_2)
	v_dual_sub_f32 v198, v16, v21 :: v_dual_sub_f32 v13, v18, v19
	s_wait_loadcnt 0x0
	ds_store_2addr_b64 v20, v[14:15], v[12:13] offset1:1
	ds_store_2addr_b64 v20, v[197:198], v[202:203] offset0:2 offset1:3
	v_dual_sub_f32 v13, v17, v205 :: v_dual_add_f32 v198, v19, v18
	v_sub_f32_e32 v17, v195, v251
	v_dual_add_f32 v15, v21, v16 :: v_dual_sub_f32 v16, v239, v195
	v_dual_sub_f32 v14, v215, v23 :: v_dual_sub_f32 v19, v240, v194
	v_dual_add_f32 v12, v209, v214 :: v_dual_sub_f32 v21, v194, v229
	v_sub_f32_e32 v197, v211, v22
	ds_store_2addr_b64 v20, v[12:13], v[14:15] offset0:4 offset1:5
	ds_store_b64 v20, v[197:198] offset:48
	v_sub_f32_e32 v12, v249, v204
	v_sub_f32_e32 v13, v204, v196
	v_dual_sub_f32 v14, v196, v249 :: v_dual_sub_f32 v15, v251, v239
	s_delay_alu instid0(VALU_DEP_3) | instskip(NEXT) | instid1(VALU_DEP_3)
	v_dual_sub_f32 v23, v241, v193 :: v_dual_mul_f32 v12, 0x3f4a47b2, v12
	v_mul_f32_e32 v195, 0x3d64c772, v13
	s_delay_alu instid0(VALU_DEP_2) | instskip(NEXT) | instid1(VALU_DEP_2)
	v_fmamk_f32 v13, v13, 0x3d64c772, v12
	v_fma_f32 v195, 0x3f3bfb3b, v14, -v195
	v_fma_f32 v12, 0xbf3bfb3b, v14, -v12
	v_mul_f32_e32 v14, 0x3f4a47b2, v15
	v_mul_f32_e32 v15, 0x3d64c772, v16
	v_sub_f32_e32 v20, v229, v240
	s_delay_alu instid0(VALU_DEP_3) | instskip(NEXT) | instid1(VALU_DEP_3)
	v_fmamk_f32 v16, v16, 0x3d64c772, v14
	v_fma_f32 v15, 0x3f3bfb3b, v17, -v15
	v_fma_f32 v14, 0xbf3bfb3b, v17, -v14
	v_mul_f32_e32 v17, 0x3f08b237, v19
	v_mul_f32_e32 v19, 0xbf5ff5aa, v21
	s_delay_alu instid0(VALU_DEP_2) | instskip(SKIP_2) | instid1(VALU_DEP_4)
	v_fma_f32 v21, 0xbf5ff5aa, v21, -v17
	v_dual_fmamk_f32 v17, v20, 0xbeae86e6, v17 :: v_dual_add_f32 v22, v241, v193
	v_sub_f32_e32 v193, v193, v230
	v_fma_f32 v19, 0x3eae86e6, v20, -v19
	v_mul_f32_e32 v20, 0x3f08b237, v23
	s_delay_alu instid0(VALU_DEP_3) | instskip(NEXT) | instid1(VALU_DEP_2)
	v_dual_add_f32 v18, v240, v194 :: v_dual_mul_f32 v23, 0xbf5ff5aa, v193
	v_fma_f32 v196, 0xbf5ff5aa, v193, -v20
	v_fmamk_f32 v193, v250, 0xbf955555, v200
	s_delay_alu instid0(VALU_DEP_1) | instskip(SKIP_4) | instid1(VALU_DEP_4)
	v_add_f32_e32 v198, v12, v193
	v_fmamk_f32 v12, v252, 0xbf955555, v201
	v_add_f32_e32 v18, v18, v229
	v_add_f32_e32 v197, v13, v193
	;; [unrolled: 1-line block ×4, first 2 shown]
	s_delay_alu instid0(VALU_DEP_4)
	v_dual_add_f32 v202, v14, v12 :: v_dual_fmac_f32 v19, 0xbee1c552, v18
	v_fmac_f32_e32 v17, 0xbee1c552, v18
	v_fmac_f32_e32 v21, 0xbee1c552, v18
	scratch_load_b32 v18, off, off offset:308 th:TH_LOAD_LU ; 4-byte Folded Reload
	v_add_f32_e32 v22, v22, v230
	v_dual_sub_f32 v15, v202, v19 :: v_dual_add_f32 v16, v16, v12
	v_sub_f32_e32 v194, v230, v241
	s_delay_alu instid0(VALU_DEP_2) | instskip(NEXT) | instid1(VALU_DEP_2)
	v_dual_fmac_f32 v196, 0xbee1c552, v22 :: v_dual_sub_f32 v13, v16, v17
	v_fma_f32 v23, 0x3eae86e6, v194, -v23
	s_delay_alu instid0(VALU_DEP_2) | instskip(NEXT) | instid1(VALU_DEP_2)
	v_sub_f32_e32 v193, v195, v196
	v_fmac_f32_e32 v23, 0xbee1c552, v22
	v_fmamk_f32 v20, v194, 0xbeae86e6, v20
	v_add_f32_e32 v194, v21, v199
	s_delay_alu instid0(VALU_DEP_3) | instskip(NEXT) | instid1(VALU_DEP_3)
	v_add_f32_e32 v14, v23, v198
	v_fmac_f32_e32 v20, 0xbee1c552, v22
	s_delay_alu instid0(VALU_DEP_1)
	v_add_f32_e32 v12, v197, v20
	s_wait_loadcnt 0x0
	ds_store_2addr_b64 v18, v[200:201], v[12:13] offset1:1
	ds_store_2addr_b64 v18, v[14:15], v[193:194] offset0:2 offset1:3
	v_dual_sub_f32 v13, v199, v21 :: v_dual_sub_f32 v14, v198, v23
	v_add_f32_e32 v15, v19, v202
	v_dual_sub_f32 v19, v27, v217 :: v_dual_add_f32 v194, v17, v16
	v_dual_add_f32 v17, v217, v9 :: v_dual_add_f32 v12, v196, v195
	v_sub_f32_e32 v193, v197, v20
	ds_store_2addr_b64 v18, v[12:13], v[14:15] offset0:4 offset1:5
	ds_store_b64 v18, v[193:194] offset:48
	v_sub_f32_e32 v13, v242, v188
	v_dual_sub_f32 v21, v216, v8 :: v_dual_sub_f32 v16, v218, v10
	v_sub_f32_e32 v12, v253, v242
	v_dual_sub_f32 v14, v188, v253 :: v_dual_sub_f32 v15, v25, v218
	s_delay_alu instid0(VALU_DEP_4) | instskip(NEXT) | instid1(VALU_DEP_3)
	v_mul_f32_e32 v23, 0x3d64c772, v13
	v_dual_add_f32 v17, v17, v27 :: v_dual_mul_f32 v12, 0x3f4a47b2, v12
	v_sub_f32_e32 v22, v233, v216
	v_sub_f32_e32 v18, v217, v9
	;; [unrolled: 1-line block ×3, first 2 shown]
	v_fma_f32 v23, 0x3f3bfb3b, v14, -v23
	v_dual_sub_f32 v10, v10, v25 :: v_dual_fmamk_f32 v13, v13, 0x3d64c772, v12
	v_fma_f32 v12, 0xbf3bfb3b, v14, -v12
	v_mul_f32_e32 v14, 0x3f4a47b2, v15
	s_delay_alu instid0(VALU_DEP_1) | instskip(NEXT) | instid1(VALU_DEP_1)
	v_dual_mul_f32 v15, 0x3d64c772, v16 :: v_dual_fmamk_f32 v16, v16, 0x3d64c772, v14
	v_fma_f32 v15, 0x3f3bfb3b, v10, -v15
	v_fma_f32 v10, 0xbf3bfb3b, v10, -v14
	v_mul_f32_e32 v14, 0x3f08b237, v18
	v_mul_f32_e32 v18, 0xbf5ff5aa, v9
	s_delay_alu instid0(VALU_DEP_2) | instskip(SKIP_1) | instid1(VALU_DEP_3)
	v_fma_f32 v25, 0xbf5ff5aa, v9, -v14
	v_fmamk_f32 v27, v19, 0xbeae86e6, v14
	v_fma_f32 v18, 0x3eae86e6, v19, -v18
	v_dual_add_f32 v20, v216, v8 :: v_dual_mul_f32 v9, 0x3f08b237, v21
	s_delay_alu instid0(VALU_DEP_4) | instskip(NEXT) | instid1(VALU_DEP_4)
	v_fmac_f32_e32 v25, 0xbee1c552, v17
	v_fmac_f32_e32 v27, 0xbee1c552, v17
	s_delay_alu instid0(VALU_DEP_4) | instskip(SKIP_2) | instid1(VALU_DEP_1)
	v_fmac_f32_e32 v18, 0xbee1c552, v17
	scratch_load_b32 v17, off, off offset:304 th:TH_LOAD_LU ; 4-byte Folded Reload
	v_dual_fmamk_f32 v21, v22, 0xbeae86e6, v9 :: v_dual_sub_f32 v8, v8, v233
	v_mul_f32_e32 v14, 0xbf5ff5aa, v8
	v_fma_f32 v19, 0xbf5ff5aa, v8, -v9
	v_fmamk_f32 v8, v24, 0xbf955555, v186
	s_delay_alu instid0(VALU_DEP_3) | instskip(NEXT) | instid1(VALU_DEP_2)
	v_fma_f32 v22, 0x3eae86e6, v22, -v14
	v_add_f32_e32 v24, v13, v8
	v_add_f32_e32 v23, v23, v8
	;; [unrolled: 1-line block ×3, first 2 shown]
	v_fmamk_f32 v8, v26, 0xbf955555, v187
	s_delay_alu instid0(VALU_DEP_1) | instskip(SKIP_2) | instid1(VALU_DEP_3)
	v_add_f32_e32 v10, v10, v8
	v_add_f32_e32 v20, v20, v233
	;; [unrolled: 1-line block ×3, first 2 shown]
	v_dual_add_f32 v26, v15, v8 :: v_dual_sub_f32 v13, v10, v18
	s_delay_alu instid0(VALU_DEP_3) | instskip(SKIP_1) | instid1(VALU_DEP_4)
	v_fmac_f32_e32 v21, 0xbee1c552, v20
	v_fmac_f32_e32 v19, 0xbee1c552, v20
	v_dual_fmac_f32 v22, 0xbee1c552, v20 :: v_dual_sub_f32 v9, v16, v27
	s_delay_alu instid0(VALU_DEP_3) | instskip(NEXT) | instid1(VALU_DEP_3)
	v_dual_add_f32 v15, v25, v26 :: v_dual_add_f32 v8, v24, v21
	v_sub_f32_e32 v14, v23, v19
	s_delay_alu instid0(VALU_DEP_3)
	v_add_f32_e32 v12, v22, v188
	s_wait_loadcnt 0x0
	ds_store_2addr_b64 v17, v[186:187], v[8:9] offset1:1
	ds_store_2addr_b64 v17, v[12:13], v[14:15] offset0:2 offset1:3
	v_add_f32_e32 v15, v27, v16
	v_add_f32_e32 v16, v11, v4
	v_dual_add_f32 v8, v19, v23 :: v_dual_sub_f32 v9, v26, v25
	v_sub_f32_e32 v12, v188, v22
	s_delay_alu instid0(VALU_DEP_3)
	v_dual_add_f32 v13, v18, v10 :: v_dual_add_f32 v16, v16, v191
	v_sub_f32_e32 v14, v24, v21
	ds_store_2addr_b64 v17, v[8:9], v[12:13] offset0:4 offset1:5
	ds_store_b64 v17, v[14:15] offset:48
	v_dual_sub_f32 v8, v213, v206 :: v_dual_sub_f32 v9, v206, v7
	v_dual_sub_f32 v7, v7, v213 :: v_dual_sub_f32 v10, v212, v192
	v_sub_f32_e32 v12, v192, v6
	s_delay_alu instid0(VALU_DEP_3) | instskip(NEXT) | instid1(VALU_DEP_4)
	v_mul_f32_e32 v8, 0x3f4a47b2, v8
	v_mul_f32_e32 v18, 0x3d64c772, v9
	v_dual_sub_f32 v6, v6, v212 :: v_dual_add_f32 v13, v189, v5
	v_sub_f32_e32 v14, v189, v5
	v_sub_f32_e32 v5, v5, v210
	v_fmamk_f32 v9, v9, 0x3d64c772, v8
	v_fma_f32 v18, 0x3f3bfb3b, v7, -v18
	v_fma_f32 v7, 0xbf3bfb3b, v7, -v8
	v_mul_f32_e32 v8, 0x3f4a47b2, v10
	v_dual_mul_f32 v10, 0x3d64c772, v12 :: v_dual_sub_f32 v15, v210, v189
	v_add_f32_e32 v13, v13, v210
	s_delay_alu instid0(VALU_DEP_3) | instskip(NEXT) | instid1(VALU_DEP_3)
	v_dual_sub_f32 v17, v11, v4 :: v_dual_fmamk_f32 v12, v12, 0x3d64c772, v8
	v_fma_f32 v10, 0x3f3bfb3b, v6, -v10
	v_fma_f32 v6, 0xbf3bfb3b, v6, -v8
	v_mul_f32_e32 v8, 0x3f08b237, v14
	v_mul_f32_e32 v14, 0xbf5ff5aa, v5
	v_sub_f32_e32 v4, v4, v191
	v_sub_f32_e32 v11, v191, v11
	s_delay_alu instid0(VALU_DEP_4)
	v_fma_f32 v19, 0xbf5ff5aa, v5, -v8
	v_fmamk_f32 v20, v15, 0xbeae86e6, v8
	v_fma_f32 v14, 0x3eae86e6, v15, -v14
	v_mul_f32_e32 v5, 0x3f08b237, v17
	v_mul_f32_e32 v8, 0xbf5ff5aa, v4
	v_fmac_f32_e32 v19, 0xbee1c552, v13
	v_fmac_f32_e32 v20, 0xbee1c552, v13
	;; [unrolled: 1-line block ×3, first 2 shown]
	scratch_load_b32 v13, off, off offset:300 th:TH_LOAD_LU ; 4-byte Folded Reload
	v_fma_f32 v15, 0xbf5ff5aa, v4, -v5
	v_fmamk_f32 v4, v208, 0xbf955555, v184
	v_fmamk_f32 v17, v11, 0xbeae86e6, v5
	v_fma_f32 v11, 0x3eae86e6, v11, -v8
	s_delay_alu instid0(VALU_DEP_4) | instskip(NEXT) | instid1(VALU_DEP_4)
	v_fmac_f32_e32 v15, 0xbee1c552, v16
	v_add_f32_e32 v21, v9, v4
	v_add_f32_e32 v18, v18, v4
	;; [unrolled: 1-line block ×3, first 2 shown]
	v_fmamk_f32 v4, v207, 0xbf955555, v185
	v_fmac_f32_e32 v17, 0xbee1c552, v16
	s_delay_alu instid0(VALU_DEP_4) | instskip(NEXT) | instid1(VALU_DEP_3)
	v_dual_fmac_f32 v11, 0xbee1c552, v16 :: v_dual_sub_f32 v8, v18, v15
	v_add_f32_e32 v12, v12, v4
	v_add_f32_e32 v10, v10, v4
	s_delay_alu instid0(VALU_DEP_4) | instskip(NEXT) | instid1(VALU_DEP_3)
	v_dual_add_f32 v23, v6, v4 :: v_dual_add_f32 v4, v21, v17
	v_dual_add_f32 v6, v11, v22 :: v_dual_sub_f32 v5, v12, v20
	s_delay_alu instid0(VALU_DEP_3) | instskip(NEXT) | instid1(VALU_DEP_3)
	v_add_f32_e32 v9, v19, v10
	v_sub_f32_e32 v7, v23, v14
	s_wait_loadcnt 0x0
	ds_store_2addr_b64 v13, v[184:185], v[4:5] offset1:1
	ds_store_2addr_b64 v13, v[6:7], v[8:9] offset0:2 offset1:3
	v_dual_add_f32 v4, v15, v18 :: v_dual_sub_f32 v5, v10, v19
	v_sub_f32_e32 v6, v22, v11
	v_dual_add_f32 v7, v14, v23 :: v_dual_sub_f32 v252, v21, v17
	v_add_f32_e32 v253, v20, v12
	ds_store_2addr_b64 v13, v[4:5], v[6:7] offset0:4 offset1:5
	ds_store_b64 v13, v[252:253] offset:48
	global_wb scope:SCOPE_SE
	s_wait_dscnt 0x0
	s_barrier_signal -1
	s_barrier_wait -1
	global_inv scope:SCOPE_SE
	ds_load_2addr_b64 v[224:227], v190 offset0:117 offset1:134
	ds_load_2addr_b64 v[220:223], v2 offset0:24 offset1:41
	;; [unrolled: 1-line block ×10, first 2 shown]
	ds_load_2addr_b64 v[184:187], v255 offset1:17
	ds_load_2addr_b64 v[248:251], v255 offset0:35 offset1:52
	ds_load_2addr_b64 v[244:247], v255 offset0:70 offset1:87
	;; [unrolled: 1-line block ×6, first 2 shown]
	s_and_saveexec_b32 s4, vcc_lo
	s_cbranch_execz .LBB0_7
; %bb.6:
	scratch_load_b32 v4, off, off offset:296 ; 4-byte Folded Reload
	ds_load_b64 v[252:253], v255 offset:272
	s_wait_loadcnt 0x0
	v_add_nc_u32_e32 v2, 0x800, v4
	v_add_nc_u32_e32 v3, 0xc00, v4
	ds_load_2addr_b64 v[32:35], v4 offset0:69 offset1:104
	ds_load_2addr_b64 v[40:43], v4 offset0:139 offset1:174
	;; [unrolled: 1-line block ×3, first 2 shown]
	v_add_nc_u32_e32 v4, 0x1000, v4
	ds_load_2addr_b64 v[56:59], v2 offset0:23 offset1:58
	ds_load_2addr_b64 v[124:127], v2 offset0:93 offset1:128
	;; [unrolled: 1-line block ×5, first 2 shown]
.LBB0_7:
	s_wait_alu 0xfffe
	s_or_b32 exec_lo, exec_lo, s4
	s_wait_dscnt 0x4
	v_dual_mul_f32 v8, v121, v249 :: v_dual_mul_f32 v3, v123, v244
	v_mul_f32_e32 v2, v121, v248
	v_mul_f32_e32 v4, v123, v245
	;; [unrolled: 1-line block ×3, first 2 shown]
	s_delay_alu instid0(VALU_DEP_4)
	v_fmac_f32_e32 v8, v120, v248
	s_wait_dscnt 0x3
	v_mul_f32_e32 v248, v117, v241
	v_fma_f32 v9, v120, v249, -v2
	v_fma_f32 v6, v122, v245, -v3
	s_wait_dscnt 0x2
	v_mul_f32_e32 v3, v119, v236
	v_mul_f32_e32 v2, v117, v240
	v_fmac_f32_e32 v248, v116, v240
	s_wait_dscnt 0x1
	v_mul_f32_e32 v240, v113, v233
	v_fmac_f32_e32 v4, v122, v244
	v_mul_f32_e32 v244, v119, v237
	v_fma_f32 v245, v116, v241, -v2
	v_mul_f32_e32 v2, v113, v232
	v_fma_f32 v241, v118, v237, -v3
	s_wait_dscnt 0x0
	v_mul_f32_e32 v3, v115, v228
	v_fmac_f32_e32 v240, v112, v232
	v_mul_f32_e32 v232, v101, v225
	v_dual_fmac_f32 v244, v118, v236 :: v_dual_mul_f32 v5, v93, v193
	v_mul_f32_e32 v236, v115, v229
	v_fma_f32 v237, v112, v233, -v2
	v_mul_f32_e32 v2, v101, v224
	v_fma_f32 v233, v114, v229, -v3
	v_fmac_f32_e32 v232, v100, v224
	v_mul_f32_e32 v224, v109, v217
	v_mul_f32_e32 v3, v109, v216
	;; [unrolled: 1-line block ×4, first 2 shown]
	s_delay_alu instid0(VALU_DEP_4) | instskip(NEXT) | instid1(VALU_DEP_4)
	v_dual_add_f32 v13, v185, v9 :: v_dual_fmac_f32 v224, v108, v216
	v_fma_f32 v216, v108, v217, -v3
	v_mul_f32_e32 v3, v105, v208
	v_fmac_f32_e32 v236, v114, v228
	v_dual_mul_f32 v228, v103, v221 :: v_dual_fmac_f32 v109, v84, v242
	v_fma_f32 v225, v100, v225, -v2
	v_mul_f32_e32 v2, v103, v220
	v_fmac_f32_e32 v229, v110, v212
	s_delay_alu instid0(VALU_DEP_4) | instskip(SKIP_1) | instid1(VALU_DEP_4)
	v_dual_fmac_f32 v228, v102, v220 :: v_dual_mul_f32 v217, v105, v209
	v_add_f32_e32 v13, v13, v6
	v_fma_f32 v220, v102, v221, -v2
	v_mul_f32_e32 v2, v111, v212
	v_mul_f32_e32 v15, v79, v222
	v_fmac_f32_e32 v217, v104, v208
	v_fma_f32 v208, v104, v209, -v3
	v_mul_f32_e32 v209, v97, v201
	v_fma_f32 v212, v110, v213, -v2
	v_mul_f32_e32 v213, v107, v205
	v_mul_f32_e32 v2, v107, v204
	;; [unrolled: 1-line block ×3, first 2 shown]
	v_dual_fmac_f32 v209, v96, v200 :: v_dual_mul_f32 v10, v95, v189
	s_delay_alu instid0(VALU_DEP_4) | instskip(NEXT) | instid1(VALU_DEP_4)
	v_fmac_f32_e32 v213, v106, v204
	v_fma_f32 v204, v106, v205, -v2
	v_dual_mul_f32 v2, v97, v200 :: v_dual_mul_f32 v205, v99, v197
	v_dual_fmac_f32 v5, v92, v192 :: v_dual_mul_f32 v114, v91, v247
	v_dual_fmac_f32 v10, v94, v188 :: v_dual_add_f32 v13, v13, v245
	s_delay_alu instid0(VALU_DEP_3) | instskip(NEXT) | instid1(VALU_DEP_4)
	v_fma_f32 v200, v96, v201, -v2
	v_fmac_f32_e32 v205, v98, v196
	v_dual_mul_f32 v2, v93, v192 :: v_dual_mul_f32 v103, v75, v215
	v_fmac_f32_e32 v114, v90, v246
	v_dual_mul_f32 v104, v87, v239 :: v_dual_add_f32 v13, v13, v241
	s_delay_alu instid0(VALU_DEP_3)
	v_fma_f32 v7, v92, v193, -v2
	v_mul_f32_e32 v2, v89, v250
	v_fma_f32 v93, v98, v197, -v3
	v_mul_f32_e32 v3, v95, v188
	v_mul_f32_e32 v97, v73, v219
	v_dual_add_f32 v13, v13, v237 :: v_dual_fmac_f32 v104, v86, v238
	v_mul_f32_e32 v102, v81, v235
	s_delay_alu instid0(VALU_DEP_4) | instskip(NEXT) | instid1(VALU_DEP_4)
	v_fma_f32 v11, v94, v189, -v3
	v_fmac_f32_e32 v97, v72, v218
	v_fma_f32 v94, v88, v251, -v2
	v_dual_mul_f32 v2, v91, v246 :: v_dual_add_f32 v13, v13, v233
	v_dual_mul_f32 v98, v83, v231 :: v_dual_fmac_f32 v103, v74, v214
	v_mul_f32_e32 v12, v83, v230
	s_delay_alu instid0(VALU_DEP_3) | instskip(NEXT) | instid1(VALU_DEP_4)
	v_fma_f32 v117, v90, v247, -v2
	v_dual_add_f32 v13, v13, v225 :: v_dual_mul_f32 v2, v87, v238
	v_fmac_f32_e32 v102, v80, v234
	v_dual_fmac_f32 v98, v82, v230 :: v_dual_mul_f32 v115, v65, v203
	s_delay_alu instid0(VALU_DEP_3) | instskip(NEXT) | instid1(VALU_DEP_4)
	v_add_f32_e32 v13, v13, v220
	v_fma_f32 v107, v86, v239, -v2
	v_mul_f32_e32 v2, v77, v227
	v_fma_f32 v100, v82, v231, -v12
	v_fmac_f32_e32 v115, v64, v202
	v_add_f32_e32 v12, v184, v8
	v_fma_f32 v101, v76, v227, -v14
	v_dual_fmac_f32 v2, v76, v226 :: v_dual_add_f32 v13, v13, v216
	v_add_f32_e32 v16, v8, v10
	v_sub_f32_e32 v8, v8, v10
	v_mul_f32_e32 v14, v73, v218
	v_fma_f32 v96, v78, v223, -v15
	v_dual_add_f32 v13, v13, v212 :: v_dual_mul_f32 v112, v71, v207
	v_mul_f32_e32 v15, v69, v210
	s_delay_alu instid0(VALU_DEP_4) | instskip(NEXT) | instid1(VALU_DEP_3)
	v_fma_f32 v99, v72, v219, -v14
	v_dual_mul_f32 v14, v75, v214 :: v_dual_add_f32 v13, v13, v208
	v_add_f32_e32 v12, v12, v4
	s_delay_alu instid0(VALU_DEP_4) | instskip(SKIP_1) | instid1(VALU_DEP_4)
	v_fma_f32 v110, v68, v211, -v15
	v_mul_f32_e32 v15, v67, v198
	v_fma_f32 v105, v74, v215, -v14
	v_dual_mul_f32 v14, v71, v206 :: v_dual_add_f32 v13, v13, v204
	v_add_f32_e32 v12, v12, v248
	v_fmac_f32_e32 v112, v70, v206
	v_fma_f32 v119, v66, v199, -v15
	s_delay_alu instid0(VALU_DEP_4) | instskip(SKIP_4) | instid1(VALU_DEP_4)
	v_fma_f32 v113, v70, v207, -v14
	v_add_f32_e32 v13, v13, v200
	v_mul_f32_e32 v14, v65, v202
	v_dual_mul_f32 v15, v63, v190 :: v_dual_add_f32 v12, v12, v244
	v_mul_f32_e32 v95, v89, v251
	v_add_f32_e32 v13, v13, v93
	s_delay_alu instid0(VALU_DEP_4)
	v_fma_f32 v116, v64, v203, -v14
	v_mul_f32_e32 v14, v61, v194
	v_mul_f32_e32 v3, v85, v242
	v_fma_f32 v123, v62, v191, -v15
	v_add_f32_e32 v13, v13, v7
	v_fmac_f32_e32 v95, v88, v250
	v_fma_f32 v121, v60, v195, -v14
	v_sub_f32_e32 v14, v9, v11
	v_mul_f32_e32 v122, v63, v191
	v_add_f32_e32 v9, v9, v11
	v_fma_f32 v111, v84, v243, -v3
	v_mul_f32_e32 v3, v81, v234
	v_mul_f32_e32 v23, 0xbf7ee86f, v14
	global_wb scope:SCOPE_SE
	v_dual_mul_f32 v19, 0x3f6eb680, v9 :: v_dual_mul_f32 v108, v69, v211
	v_fma_f32 v106, v80, v235, -v3
	v_fmamk_f32 v25, v16, 0x3dbcf732, v23
	v_dual_add_f32 v12, v12, v240 :: v_dual_mul_f32 v17, 0xbeb8f4ab, v14
	v_mul_f32_e32 v3, v79, v223
	v_add_f32_e32 v69, v13, v11
	v_fmamk_f32 v11, v8, 0x3eb8f4ab, v19
	s_delay_alu instid0(VALU_DEP_4) | instskip(SKIP_2) | instid1(VALU_DEP_3)
	v_add_f32_e32 v12, v12, v236
	v_dual_fmac_f32 v19, 0xbeb8f4ab, v8 :: v_dual_fmac_f32 v108, v68, v210
	v_mul_f32_e32 v15, 0x3f3d2fb0, v9
	v_dual_add_f32 v11, v185, v11 :: v_dual_add_f32 v12, v12, v232
	v_mul_f32_e32 v26, 0x3dbcf732, v9
	v_fma_f32 v13, 0x3f6eb680, v16, -v17
	v_mul_f32_e32 v118, v67, v199
	v_fmamk_f32 v18, v16, 0x3f6eb680, v17
	v_add_f32_e32 v12, v12, v228
	v_fmamk_f32 v27, v8, 0x3f7ee86f, v26
	v_add_f32_e32 v13, v184, v13
	v_fmac_f32_e32 v3, v78, v222
	s_barrier_signal -1
	s_delay_alu instid0(VALU_DEP_3)
	v_dual_add_f32 v12, v12, v224 :: v_dual_add_f32 v27, v185, v27
	s_barrier_wait -1
	v_mul_f32_e32 v67, 0xbf06c442, v14
	global_inv scope:SCOPE_SE
	v_add_f32_e32 v12, v12, v229
	v_add_f32_e32 v25, v184, v25
	v_mul_f32_e32 v72, 0xbf59a7d5, v9
	v_add_f32_e32 v77, v4, v5
	v_add_f32_e32 v189, v228, v224
	;; [unrolled: 1-line block ×3, first 2 shown]
	v_sub_f32_e32 v193, v117, v121
	s_delay_alu instid0(VALU_DEP_2) | instskip(NEXT) | instid1(VALU_DEP_1)
	v_add_f32_e32 v12, v12, v213
	v_add_f32_e32 v12, v12, v209
	s_delay_alu instid0(VALU_DEP_1) | instskip(NEXT) | instid1(VALU_DEP_1)
	v_add_f32_e32 v12, v12, v205
	v_add_f32_e32 v12, v12, v5
	s_delay_alu instid0(VALU_DEP_1) | instskip(SKIP_1) | instid1(VALU_DEP_1)
	v_add_f32_e32 v68, v12, v10
	v_mul_f32_e32 v12, 0xbf2c7751, v14
	v_dual_fmamk_f32 v17, v16, 0x3f3d2fb0, v12 :: v_dual_mul_f32 v120, v61, v195
	v_mul_f32_e32 v61, 0xbe8c1d8e, v9
	s_delay_alu instid0(VALU_DEP_2) | instskip(NEXT) | instid1(VALU_DEP_3)
	v_add_f32_e32 v17, v184, v17
	v_fmac_f32_e32 v120, v60, v194
	s_delay_alu instid0(VALU_DEP_3) | instskip(SKIP_1) | instid1(VALU_DEP_1)
	v_fmamk_f32 v63, v8, 0x3f763a35, v61
	v_fmac_f32_e32 v61, 0xbf763a35, v8
	v_dual_add_f32 v61, v185, v61 :: v_dual_fmac_f32 v118, v66, v198
	v_mul_f32_e32 v66, 0xbf1a4643, v9
	v_fmamk_f32 v73, v8, 0x3f06c442, v72
	s_delay_alu instid0(VALU_DEP_1) | instskip(SKIP_1) | instid1(VALU_DEP_2)
	v_dual_fmamk_f32 v70, v8, 0x3f4c4adb, v66 :: v_dual_add_f32 v73, v185, v73
	v_fmac_f32_e32 v66, 0xbf4c4adb, v8
	v_add_f32_e32 v70, v185, v70
	v_add_f32_e32 v63, v185, v63
	v_fmamk_f32 v71, v16, 0xbf59a7d5, v67
	v_mul_f32_e32 v22, 0x3ee437d1, v9
	v_dual_mul_f32 v9, 0xbf7ba420, v9 :: v_dual_sub_f32 v76, v6, v7
	v_fma_f32 v12, 0x3f3d2fb0, v16, -v12
	s_delay_alu instid0(VALU_DEP_4) | instskip(SKIP_1) | instid1(VALU_DEP_4)
	v_add_f32_e32 v71, v184, v71
	v_fma_f32 v67, 0xbf59a7d5, v16, -v67
	v_fmamk_f32 v75, v8, 0x3e3c28d5, v9
	v_fmac_f32_e32 v9, 0xbe3c28d5, v8
	v_fmamk_f32 v24, v8, 0x3f65296c, v22
	v_mul_f32_e32 v64, 0xbf4c4adb, v14
	s_delay_alu instid0(VALU_DEP_4) | instskip(NEXT) | instid1(VALU_DEP_4)
	v_dual_add_f32 v10, v184, v18 :: v_dual_add_f32 v75, v185, v75
	v_add_f32_e32 v9, v185, v9
	s_delay_alu instid0(VALU_DEP_4) | instskip(NEXT) | instid1(VALU_DEP_4)
	v_add_f32_e32 v24, v185, v24
	v_dual_add_f32 v18, v185, v19 :: v_dual_fmamk_f32 v65, v16, 0xbf1a4643, v64
	v_fmac_f32_e32 v22, 0xbf65296c, v8
	v_dual_add_f32 v6, v6, v7 :: v_dual_mul_f32 v7, 0xbf2c7751, v76
	v_add_f32_e32 v12, v184, v12
	s_delay_alu instid0(VALU_DEP_3) | instskip(NEXT) | instid1(VALU_DEP_3)
	v_dual_add_f32 v65, v184, v65 :: v_dual_add_f32 v22, v185, v22
	v_dual_sub_f32 v4, v4, v5 :: v_dual_mul_f32 v5, 0x3f3d2fb0, v6
	v_fma_f32 v23, 0x3dbcf732, v16, -v23
	v_add_f32_e32 v67, v184, v67
	v_fmamk_f32 v19, v8, 0x3f2c7751, v15
	v_mul_f32_e32 v20, 0xbf65296c, v14
	v_fmamk_f32 v78, v4, 0x3f2c7751, v5
	v_fmac_f32_e32 v5, 0xbf2c7751, v4
	v_fmac_f32_e32 v26, 0xbf7ee86f, v8
	;; [unrolled: 1-line block ×3, first 2 shown]
	v_dual_add_f32 v23, v184, v23 :: v_dual_fmac_f32 v72, 0xbf06c442, v8
	s_delay_alu instid0(VALU_DEP_4) | instskip(NEXT) | instid1(VALU_DEP_4)
	v_add_f32_e32 v5, v5, v18
	v_add_f32_e32 v26, v185, v26
	v_fmamk_f32 v8, v77, 0x3f3d2fb0, v7
	v_fma_f32 v7, 0x3f3d2fb0, v77, -v7
	v_mul_f32_e32 v60, 0xbf763a35, v14
	v_dual_mul_f32 v14, 0xbe3c28d5, v14 :: v_dual_add_f32 v19, v185, v19
	v_fmamk_f32 v21, v16, 0x3ee437d1, v20
	v_fmac_f32_e32 v122, v62, v190
	v_fma_f32 v20, 0x3ee437d1, v16, -v20
	s_delay_alu instid0(VALU_DEP_4)
	v_fmamk_f32 v74, v16, 0xbf7ba420, v14
	v_fma_f32 v14, 0xbf7ba420, v16, -v14
	v_dual_add_f32 v7, v7, v13 :: v_dual_fmamk_f32 v62, v16, 0xbe8c1d8e, v60
	v_fma_f32 v60, 0xbe8c1d8e, v16, -v60
	v_mul_f32_e32 v13, 0xbf4c4adb, v76
	v_fma_f32 v64, 0xbf1a4643, v16, -v64
	v_mul_f32_e32 v16, 0xbf7ee86f, v76
	v_dual_add_f32 v20, v184, v20 :: v_dual_add_f32 v11, v78, v11
	v_add_f32_e32 v8, v8, v10
	v_mul_f32_e32 v78, 0x3dbcf732, v6
	s_delay_alu instid0(VALU_DEP_4) | instskip(SKIP_2) | instid1(VALU_DEP_3)
	v_fmamk_f32 v10, v77, 0x3dbcf732, v16
	v_fma_f32 v16, 0x3dbcf732, v77, -v16
	v_dual_mul_f32 v18, 0xbf1a4643, v6 :: v_dual_add_f32 v21, v184, v21
	v_dual_fmamk_f32 v79, v77, 0xbf1a4643, v13 :: v_dual_add_f32 v10, v10, v17
	s_delay_alu instid0(VALU_DEP_3) | instskip(NEXT) | instid1(VALU_DEP_3)
	v_add_f32_e32 v12, v16, v12
	v_fmamk_f32 v16, v4, 0x3f4c4adb, v18
	v_fmac_f32_e32 v18, 0xbf4c4adb, v4
	v_fmamk_f32 v17, v4, 0x3f7ee86f, v78
	v_dual_add_f32 v15, v185, v15 :: v_dual_add_f32 v60, v184, v60
	v_fmac_f32_e32 v78, 0xbf7ee86f, v4
	s_delay_alu instid0(VALU_DEP_3)
	v_dual_add_f32 v18, v18, v22 :: v_dual_add_f32 v17, v17, v19
	v_dual_add_f32 v62, v184, v62 :: v_dual_add_f32 v19, v79, v21
	v_mul_f32_e32 v21, 0xbe3c28d5, v76
	v_fma_f32 v13, 0xbf1a4643, v77, -v13
	v_add_f32_e32 v16, v16, v24
	v_dual_mul_f32 v24, 0xbf7ba420, v6 :: v_dual_add_f32 v15, v78, v15
	s_delay_alu instid0(VALU_DEP_4) | instskip(NEXT) | instid1(VALU_DEP_4)
	v_fmamk_f32 v78, v77, 0xbf7ba420, v21
	v_add_f32_e32 v13, v13, v20
	v_mul_f32_e32 v20, 0x3f06c442, v76
	s_delay_alu instid0(VALU_DEP_4) | instskip(NEXT) | instid1(VALU_DEP_4)
	v_fmamk_f32 v22, v4, 0x3e3c28d5, v24
	v_dual_add_f32 v64, v184, v64 :: v_dual_add_f32 v25, v78, v25
	v_fma_f32 v21, 0xbf7ba420, v77, -v21
	v_fmac_f32_e32 v24, 0xbe3c28d5, v4
	v_fmamk_f32 v78, v77, 0xbf59a7d5, v20
	v_dual_add_f32 v22, v22, v27 :: v_dual_mul_f32 v27, 0xbf59a7d5, v6
	s_delay_alu instid0(VALU_DEP_4) | instskip(NEXT) | instid1(VALU_DEP_4)
	v_add_f32_e32 v21, v21, v23
	v_add_f32_e32 v23, v24, v26
	s_delay_alu instid0(VALU_DEP_4)
	v_add_f32_e32 v24, v78, v62
	v_mul_f32_e32 v26, 0x3f763a35, v76
	v_fmamk_f32 v62, v4, 0xbf06c442, v27
	v_fma_f32 v20, 0xbf59a7d5, v77, -v20
	v_mul_f32_e32 v78, 0xbe8c1d8e, v6
	v_add_f32_e32 v72, v185, v72
	s_delay_alu instid0(VALU_DEP_4)
	v_dual_fmamk_f32 v79, v77, 0xbe8c1d8e, v26 :: v_dual_add_f32 v62, v62, v63
	v_dual_mul_f32 v63, 0x3f65296c, v76 :: v_dual_add_f32 v66, v185, v66
	v_dual_fmac_f32 v27, 0x3f06c442, v4 :: v_dual_add_f32 v14, v184, v14
	v_add_f32_e32 v20, v20, v60
	v_fmamk_f32 v60, v4, 0xbf763a35, v78
	v_fma_f32 v26, 0xbe8c1d8e, v77, -v26
	s_delay_alu instid0(VALU_DEP_4) | instskip(SKIP_1) | instid1(VALU_DEP_3)
	v_dual_add_f32 v27, v27, v61 :: v_dual_add_f32 v74, v184, v74
	v_dual_add_f32 v61, v79, v65 :: v_dual_fmac_f32 v78, 0x3f763a35, v4
	v_dual_mul_f32 v65, 0x3ee437d1, v6 :: v_dual_add_f32 v26, v26, v64
	v_add_f32_e32 v190, v220, v216
	v_sub_f32_e32 v184, v220, v216
	s_delay_alu instid0(VALU_DEP_4) | instskip(SKIP_3) | instid1(VALU_DEP_2)
	v_add_f32_e32 v64, v78, v66
	v_mul_f32_e32 v66, 0x3eb8f4ab, v76
	v_fmamk_f32 v76, v4, 0xbf65296c, v65
	v_fmac_f32_e32 v65, 0x3f65296c, v4
	v_add_f32_e32 v73, v76, v73
	s_delay_alu instid0(VALU_DEP_2) | instskip(NEXT) | instid1(VALU_DEP_1)
	v_dual_add_f32 v65, v65, v72 :: v_dual_mul_f32 v6, 0x3f6eb680, v6
	v_fmamk_f32 v72, v4, 0xbeb8f4ab, v6
	v_fmac_f32_e32 v6, 0x3eb8f4ab, v4
	v_sub_f32_e32 v4, v248, v205
	v_add_f32_e32 v60, v60, v70
	v_fmamk_f32 v70, v77, 0x3ee437d1, v63
	v_fma_f32 v63, 0x3ee437d1, v77, -v63
	v_add_f32_e32 v72, v72, v75
	v_add_f32_e32 v6, v6, v9
	s_delay_alu instid0(VALU_DEP_4) | instskip(NEXT) | instid1(VALU_DEP_4)
	v_dual_add_f32 v70, v70, v71 :: v_dual_fmamk_f32 v71, v77, 0x3f6eb680, v66
	v_add_f32_e32 v63, v63, v67
	v_fma_f32 v66, 0x3f6eb680, v77, -v66
	s_delay_alu instid0(VALU_DEP_3) | instskip(SKIP_3) | instid1(VALU_DEP_3)
	v_add_f32_e32 v67, v71, v74
	v_sub_f32_e32 v71, v245, v93
	v_add_f32_e32 v74, v245, v93
	v_add_f32_e32 v76, v248, v205
	v_dual_add_f32 v14, v66, v14 :: v_dual_mul_f32 v77, 0xbf65296c, v71
	s_delay_alu instid0(VALU_DEP_3) | instskip(SKIP_1) | instid1(VALU_DEP_3)
	v_mul_f32_e32 v78, 0x3ee437d1, v74
	v_mul_f32_e32 v79, 0xbf7ba420, v74
	v_fmamk_f32 v75, v76, 0x3ee437d1, v77
	s_delay_alu instid0(VALU_DEP_1) | instskip(SKIP_1) | instid1(VALU_DEP_2)
	v_dual_fmamk_f32 v9, v4, 0x3f65296c, v78 :: v_dual_add_f32 v8, v75, v8
	v_fma_f32 v75, 0x3ee437d1, v76, -v77
	v_add_f32_e32 v9, v9, v11
	v_mul_f32_e32 v66, 0xbf4c4adb, v71
	v_mul_f32_e32 v77, 0xbf1a4643, v74
	s_delay_alu instid0(VALU_DEP_4) | instskip(NEXT) | instid1(VALU_DEP_3)
	v_dual_add_f32 v7, v75, v7 :: v_dual_fmac_f32 v78, 0xbf65296c, v4
	v_fmamk_f32 v11, v76, 0xbf1a4643, v66
	v_mul_f32_e32 v75, 0x3e3c28d5, v71
	s_delay_alu instid0(VALU_DEP_2) | instskip(SKIP_2) | instid1(VALU_DEP_2)
	v_dual_add_f32 v5, v78, v5 :: v_dual_add_f32 v10, v11, v10
	v_fmamk_f32 v11, v4, 0x3f4c4adb, v77
	v_fmac_f32_e32 v77, 0xbf4c4adb, v4
	v_dual_fmamk_f32 v78, v76, 0xbf7ba420, v75 :: v_dual_add_f32 v11, v11, v17
	s_delay_alu instid0(VALU_DEP_2) | instskip(NEXT) | instid1(VALU_DEP_2)
	v_add_f32_e32 v15, v77, v15
	v_add_f32_e32 v17, v78, v19
	v_fmamk_f32 v19, v4, 0xbe3c28d5, v79
	v_fmac_f32_e32 v79, 0x3e3c28d5, v4
	v_mul_f32_e32 v77, 0xbe8c1d8e, v74
	v_fma_f32 v66, 0xbf1a4643, v76, -v66
	v_fma_f32 v75, 0xbf7ba420, v76, -v75
	v_add_f32_e32 v16, v19, v16
	v_mul_f32_e32 v78, 0x3f2c7751, v71
	s_delay_alu instid0(VALU_DEP_4) | instskip(NEXT) | instid1(VALU_DEP_4)
	v_add_f32_e32 v12, v66, v12
	v_dual_mul_f32 v66, 0x3f763a35, v71 :: v_dual_add_f32 v13, v75, v13
	v_fmamk_f32 v75, v4, 0xbf763a35, v77
	s_delay_alu instid0(VALU_DEP_1) | instskip(SKIP_2) | instid1(VALU_DEP_3)
	v_dual_fmamk_f32 v19, v76, 0xbe8c1d8e, v66 :: v_dual_add_f32 v22, v75, v22
	v_mul_f32_e32 v75, 0x3f3d2fb0, v74
	v_fmac_f32_e32 v77, 0x3f763a35, v4
	v_add_f32_e32 v19, v19, v25
	v_fma_f32 v25, 0xbe8c1d8e, v76, -v66
	v_fmamk_f32 v66, v76, 0x3f3d2fb0, v78
	s_delay_alu instid0(VALU_DEP_4) | instskip(SKIP_1) | instid1(VALU_DEP_4)
	v_dual_add_f32 v18, v79, v18 :: v_dual_add_f32 v23, v77, v23
	v_fma_f32 v77, 0x3f3d2fb0, v76, -v78
	v_add_f32_e32 v21, v25, v21
	s_delay_alu instid0(VALU_DEP_4) | instskip(SKIP_2) | instid1(VALU_DEP_3)
	v_dual_mul_f32 v25, 0xbeb8f4ab, v71 :: v_dual_add_f32 v24, v66, v24
	v_fmamk_f32 v66, v4, 0xbf2c7751, v75
	v_fmac_f32_e32 v75, 0x3f2c7751, v4
	v_dual_mul_f32 v79, 0x3f6eb680, v74 :: v_dual_fmamk_f32 v78, v76, 0x3f6eb680, v25
	v_add_f32_e32 v20, v77, v20
	v_fma_f32 v25, 0x3f6eb680, v76, -v25
	v_mul_f32_e32 v77, 0x3dbcf732, v74
	v_add_f32_e32 v27, v75, v27
	v_add_f32_e32 v61, v78, v61
	v_mul_f32_e32 v75, 0xbf7ee86f, v71
	s_delay_alu instid0(VALU_DEP_4)
	v_dual_add_f32 v25, v25, v26 :: v_dual_fmamk_f32 v26, v4, 0x3f7ee86f, v77
	v_mul_f32_e32 v71, 0xbf06c442, v71
	v_mul_f32_e32 v74, 0xbf59a7d5, v74
	v_add_f32_e32 v62, v66, v62
	v_fmamk_f32 v66, v4, 0x3eb8f4ab, v79
	v_dual_fmac_f32 v79, 0xbeb8f4ab, v4 :: v_dual_add_f32 v26, v26, v73
	v_dual_fmamk_f32 v73, v76, 0xbf59a7d5, v71 :: v_dual_add_f32 v78, v241, v200
	s_delay_alu instid0(VALU_DEP_3) | instskip(SKIP_2) | instid1(VALU_DEP_4)
	v_add_f32_e32 v60, v66, v60
	v_fmamk_f32 v66, v76, 0x3dbcf732, v75
	v_fmac_f32_e32 v77, 0xbf7ee86f, v4
	v_add_f32_e32 v67, v73, v67
	v_fmamk_f32 v73, v4, 0x3f06c442, v74
	v_fmac_f32_e32 v74, 0xbf06c442, v4
	v_sub_f32_e32 v4, v244, v209
	v_dual_add_f32 v64, v79, v64 :: v_dual_mul_f32 v79, 0x3dbcf732, v78
	v_add_f32_e32 v66, v66, v70
	v_fma_f32 v70, 0x3dbcf732, v76, -v75
	v_add_f32_e32 v75, v244, v209
	v_fma_f32 v71, 0xbf59a7d5, v76, -v71
	v_add_f32_e32 v72, v73, v72
	v_add_f32_e32 v65, v77, v65
	v_dual_add_f32 v63, v70, v63 :: v_dual_sub_f32 v70, v241, v200
	s_delay_alu instid0(VALU_DEP_4) | instskip(SKIP_1) | instid1(VALU_DEP_3)
	v_dual_add_f32 v14, v71, v14 :: v_dual_fmamk_f32 v71, v4, 0x3f7ee86f, v79
	v_add_f32_e32 v6, v74, v6
	v_mul_f32_e32 v73, 0xbe3c28d5, v70
	s_delay_alu instid0(VALU_DEP_3) | instskip(NEXT) | instid1(VALU_DEP_2)
	v_add_f32_e32 v9, v71, v9
	v_fmamk_f32 v71, v75, 0xbf7ba420, v73
	v_mul_f32_e32 v77, 0xbf7ee86f, v70
	s_delay_alu instid0(VALU_DEP_2) | instskip(NEXT) | instid1(VALU_DEP_2)
	v_add_f32_e32 v10, v71, v10
	v_fmamk_f32 v76, v75, 0x3dbcf732, v77
	v_fma_f32 v74, 0x3dbcf732, v75, -v77
	v_mul_f32_e32 v77, 0x3f763a35, v70
	v_fma_f32 v71, 0xbf7ba420, v75, -v73
	s_delay_alu instid0(VALU_DEP_3) | instskip(NEXT) | instid1(VALU_DEP_3)
	v_add_f32_e32 v7, v74, v7
	v_dual_fmamk_f32 v73, v75, 0xbe8c1d8e, v77 :: v_dual_add_f32 v8, v76, v8
	v_mul_f32_e32 v76, 0xbf7ba420, v78
	s_delay_alu instid0(VALU_DEP_4) | instskip(NEXT) | instid1(VALU_DEP_2)
	v_dual_add_f32 v12, v71, v12 :: v_dual_mul_f32 v71, 0x3eb8f4ab, v70
	v_dual_add_f32 v17, v73, v17 :: v_dual_fmamk_f32 v74, v4, 0x3e3c28d5, v76
	s_delay_alu instid0(VALU_DEP_1) | instskip(NEXT) | instid1(VALU_DEP_1)
	v_dual_fmac_f32 v76, 0xbe3c28d5, v4 :: v_dual_add_f32 v11, v74, v11
	v_add_f32_e32 v15, v76, v15
	v_fma_f32 v76, 0xbe8c1d8e, v75, -v77
	v_fmamk_f32 v77, v75, 0x3f6eb680, v71
	v_fma_f32 v71, 0x3f6eb680, v75, -v71
	v_fmac_f32_e32 v79, 0xbf7ee86f, v4
	s_delay_alu instid0(VALU_DEP_4) | instskip(NEXT) | instid1(VALU_DEP_4)
	v_dual_add_f32 v13, v76, v13 :: v_dual_mul_f32 v76, 0x3ee437d1, v78
	v_add_f32_e32 v19, v77, v19
	s_delay_alu instid0(VALU_DEP_4)
	v_add_f32_e32 v21, v71, v21
	v_mul_f32_e32 v77, 0xbf06c442, v70
	v_add_f32_e32 v5, v79, v5
	v_fmamk_f32 v71, v4, 0x3f65296c, v76
	v_fmac_f32_e32 v76, 0xbf65296c, v4
	v_mul_f32_e32 v74, 0xbe8c1d8e, v78
	v_mul_f32_e32 v79, 0x3f6eb680, v78
	s_delay_alu instid0(VALU_DEP_3) | instskip(NEXT) | instid1(VALU_DEP_3)
	v_add_f32_e32 v27, v76, v27
	v_fmamk_f32 v73, v4, 0xbf763a35, v74
	v_fma_f32 v76, 0xbf59a7d5, v75, -v77
	s_delay_alu instid0(VALU_DEP_1) | instskip(NEXT) | instid1(VALU_DEP_1)
	v_dual_fmac_f32 v74, 0x3f763a35, v4 :: v_dual_add_f32 v25, v76, v25
	v_add_f32_e32 v18, v74, v18
	v_mul_f32_e32 v74, 0xbf65296c, v70
	v_dual_add_f32 v16, v73, v16 :: v_dual_fmamk_f32 v73, v4, 0xbeb8f4ab, v79
	s_delay_alu instid0(VALU_DEP_1) | instskip(NEXT) | instid1(VALU_DEP_3)
	v_dual_fmac_f32 v79, 0x3eb8f4ab, v4 :: v_dual_add_f32 v22, v73, v22
	v_fmamk_f32 v73, v75, 0x3ee437d1, v74
	s_delay_alu instid0(VALU_DEP_2) | instskip(SKIP_2) | instid1(VALU_DEP_4)
	v_add_f32_e32 v23, v79, v23
	v_mul_f32_e32 v79, 0xbf1a4643, v78
	v_add_f32_e32 v62, v71, v62
	v_dual_fmamk_f32 v71, v75, 0xbf59a7d5, v77 :: v_dual_add_f32 v24, v73, v24
	v_fma_f32 v73, 0x3ee437d1, v75, -v74
	s_delay_alu instid0(VALU_DEP_2) | instskip(NEXT) | instid1(VALU_DEP_2)
	v_dual_mul_f32 v74, 0xbf59a7d5, v78 :: v_dual_add_f32 v61, v71, v61
	v_dual_add_f32 v20, v73, v20 :: v_dual_mul_f32 v73, 0x3f4c4adb, v70
	s_delay_alu instid0(VALU_DEP_2) | instskip(SKIP_1) | instid1(VALU_DEP_3)
	v_fmamk_f32 v71, v4, 0x3f06c442, v74
	v_fmac_f32_e32 v74, 0xbf06c442, v4
	v_fmamk_f32 v77, v75, 0xbf1a4643, v73
	v_fma_f32 v73, 0xbf1a4643, v75, -v73
	s_delay_alu instid0(VALU_DEP_4) | instskip(NEXT) | instid1(VALU_DEP_3)
	v_dual_add_f32 v60, v71, v60 :: v_dual_fmamk_f32 v71, v4, 0xbf4c4adb, v79
	v_dual_fmac_f32 v79, 0x3f4c4adb, v4 :: v_dual_add_f32 v66, v77, v66
	s_delay_alu instid0(VALU_DEP_3) | instskip(SKIP_3) | instid1(VALU_DEP_3)
	v_add_f32_e32 v63, v73, v63
	v_dual_sub_f32 v73, v237, v204 :: v_dual_mul_f32 v70, 0x3f2c7751, v70
	v_add_f32_e32 v64, v74, v64
	v_mul_f32_e32 v74, 0x3f3d2fb0, v78
	v_dual_add_f32 v26, v71, v26 :: v_dual_mul_f32 v77, 0xbf763a35, v73
	s_delay_alu instid0(VALU_DEP_4) | instskip(SKIP_1) | instid1(VALU_DEP_4)
	v_fmamk_f32 v71, v75, 0x3f3d2fb0, v70
	v_fma_f32 v70, 0x3f3d2fb0, v75, -v70
	v_fmamk_f32 v76, v4, 0xbf2c7751, v74
	v_fmac_f32_e32 v74, 0x3f2c7751, v4
	s_delay_alu instid0(VALU_DEP_4) | instskip(SKIP_1) | instid1(VALU_DEP_4)
	v_dual_sub_f32 v4, v240, v213 :: v_dual_add_f32 v67, v71, v67
	v_add_f32_e32 v65, v79, v65
	v_add_f32_e32 v71, v76, v72
	;; [unrolled: 1-line block ×3, first 2 shown]
	s_delay_alu instid0(VALU_DEP_1) | instskip(SKIP_1) | instid1(VALU_DEP_2)
	v_dual_add_f32 v72, v240, v213 :: v_dual_mul_f32 v75, 0xbe8c1d8e, v76
	v_add_f32_e32 v6, v74, v6
	v_fmamk_f32 v78, v72, 0xbe8c1d8e, v77
	v_fma_f32 v77, 0xbe8c1d8e, v72, -v77
	s_delay_alu instid0(VALU_DEP_1) | instskip(NEXT) | instid1(VALU_DEP_1)
	v_dual_fmamk_f32 v74, v4, 0x3f763a35, v75 :: v_dual_add_f32 v7, v77, v7
	v_dual_add_f32 v9, v74, v9 :: v_dual_mul_f32 v74, 0xbf59a7d5, v76
	s_delay_alu instid0(VALU_DEP_1) | instskip(NEXT) | instid1(VALU_DEP_1)
	v_fmamk_f32 v77, v4, 0xbf06c442, v74
	v_dual_fmac_f32 v74, 0x3f06c442, v4 :: v_dual_add_f32 v11, v77, v11
	s_delay_alu instid0(VALU_DEP_1) | instskip(NEXT) | instid1(VALU_DEP_1)
	v_dual_add_f32 v15, v74, v15 :: v_dual_mul_f32 v74, 0xbf65296c, v73
	v_fmamk_f32 v77, v72, 0x3ee437d1, v74
	v_fma_f32 v74, 0x3ee437d1, v72, -v74
	s_delay_alu instid0(VALU_DEP_2) | instskip(SKIP_2) | instid1(VALU_DEP_4)
	v_dual_add_f32 v19, v77, v19 :: v_dual_add_f32 v14, v70, v14
	v_fmac_f32_e32 v75, 0xbf763a35, v4
	v_mul_f32_e32 v70, 0x3f06c442, v73
	v_add_f32_e32 v21, v74, v21
	s_delay_alu instid0(VALU_DEP_3) | instskip(SKIP_1) | instid1(VALU_DEP_1)
	v_add_f32_e32 v5, v75, v5
	v_mul_f32_e32 v75, 0x3f2c7751, v73
	v_fmamk_f32 v79, v72, 0x3f3d2fb0, v75
	v_fma_f32 v75, 0x3f3d2fb0, v72, -v75
	s_delay_alu instid0(VALU_DEP_2) | instskip(NEXT) | instid1(VALU_DEP_2)
	v_add_f32_e32 v17, v79, v17
	v_dual_add_f32 v13, v75, v13 :: v_dual_add_f32 v8, v78, v8
	v_mul_f32_e32 v75, 0xbe3c28d5, v73
	v_fmamk_f32 v78, v72, 0xbf59a7d5, v70
	v_fma_f32 v70, 0xbf59a7d5, v72, -v70
	s_delay_alu instid0(VALU_DEP_2) | instskip(SKIP_1) | instid1(VALU_DEP_3)
	v_dual_fmamk_f32 v77, v72, 0xbf7ba420, v75 :: v_dual_add_f32 v10, v78, v10
	v_mul_f32_e32 v78, 0x3f3d2fb0, v76
	v_add_f32_e32 v12, v70, v12
	v_fma_f32 v75, 0xbf7ba420, v72, -v75
	s_delay_alu instid0(VALU_DEP_4) | instskip(SKIP_4) | instid1(VALU_DEP_3)
	v_add_f32_e32 v24, v77, v24
	v_mul_f32_e32 v77, 0x3dbcf732, v76
	v_fmamk_f32 v70, v4, 0xbf2c7751, v78
	v_fmac_f32_e32 v78, 0x3f2c7751, v4
	v_dual_add_f32 v20, v75, v20 :: v_dual_mul_f32 v75, 0xbeb8f4ab, v73
	v_add_f32_e32 v16, v70, v16
	v_mul_f32_e32 v70, 0x3ee437d1, v76
	s_delay_alu instid0(VALU_DEP_4) | instskip(NEXT) | instid1(VALU_DEP_2)
	v_add_f32_e32 v18, v78, v18
	v_fmamk_f32 v78, v4, 0x3f65296c, v70
	v_fmac_f32_e32 v70, 0xbf65296c, v4
	s_delay_alu instid0(VALU_DEP_2) | instskip(NEXT) | instid1(VALU_DEP_2)
	v_add_f32_e32 v22, v78, v22
	v_dual_mul_f32 v78, 0xbf7ba420, v76 :: v_dual_add_f32 v23, v70, v23
	v_mul_f32_e32 v70, 0x3f7ee86f, v73
	s_delay_alu instid0(VALU_DEP_2) | instskip(SKIP_1) | instid1(VALU_DEP_3)
	v_fmamk_f32 v74, v4, 0x3e3c28d5, v78
	v_fmac_f32_e32 v78, 0xbe3c28d5, v4
	v_fmamk_f32 v79, v72, 0x3dbcf732, v70
	v_fma_f32 v70, 0x3dbcf732, v72, -v70
	s_delay_alu instid0(VALU_DEP_3) | instskip(NEXT) | instid1(VALU_DEP_2)
	v_dual_add_f32 v27, v78, v27 :: v_dual_fmamk_f32 v78, v72, 0x3f6eb680, v75
	v_add_f32_e32 v25, v70, v25
	v_mul_f32_e32 v70, 0xbf4c4adb, v73
	v_add_f32_e32 v62, v74, v62
	v_fmamk_f32 v74, v4, 0xbf7ee86f, v77
	v_fmac_f32_e32 v77, 0x3f7ee86f, v4
	v_fma_f32 v75, 0x3f6eb680, v72, -v75
	s_delay_alu instid0(VALU_DEP_3) | instskip(NEXT) | instid1(VALU_DEP_2)
	v_dual_add_f32 v61, v79, v61 :: v_dual_add_f32 v60, v74, v60
	v_dual_mul_f32 v74, 0x3f6eb680, v76 :: v_dual_add_f32 v63, v75, v63
	s_delay_alu instid0(VALU_DEP_1) | instskip(SKIP_1) | instid1(VALU_DEP_2)
	v_fmamk_f32 v73, v4, 0x3eb8f4ab, v74
	v_fmac_f32_e32 v74, 0xbeb8f4ab, v4
	v_dual_add_f32 v26, v73, v26 :: v_dual_mul_f32 v73, 0xbf1a4643, v76
	s_delay_alu instid0(VALU_DEP_2) | instskip(NEXT) | instid1(VALU_DEP_2)
	v_add_f32_e32 v65, v74, v65
	v_fmamk_f32 v75, v4, 0x3f4c4adb, v73
	v_dual_fmac_f32 v73, 0xbf4c4adb, v4 :: v_dual_sub_f32 v4, v236, v217
	v_sub_f32_e32 v74, v233, v208
	v_add_f32_e32 v76, v236, v217
	v_dual_add_f32 v64, v77, v64 :: v_dual_fmamk_f32 v77, v72, 0xbf1a4643, v70
	v_fma_f32 v70, 0xbf1a4643, v72, -v70
	v_dual_add_f32 v72, v233, v208 :: v_dual_add_f32 v71, v75, v71
	v_add_f32_e32 v6, v73, v6
	s_delay_alu instid0(VALU_DEP_4) | instskip(SKIP_3) | instid1(VALU_DEP_3)
	v_add_f32_e32 v67, v77, v67
	v_mul_f32_e32 v77, 0xbf4c4adb, v74
	v_mul_f32_e32 v73, 0x3f763a35, v74
	v_dual_mul_f32 v79, 0x3f6eb680, v72 :: v_dual_add_f32 v66, v78, v66
	v_dual_mul_f32 v78, 0xbf1a4643, v72 :: v_dual_fmamk_f32 v75, v76, 0xbf1a4643, v77
	s_delay_alu instid0(VALU_DEP_1) | instskip(SKIP_2) | instid1(VALU_DEP_4)
	v_add_f32_e32 v8, v75, v8
	v_fma_f32 v75, 0xbf1a4643, v76, -v77
	v_dual_mul_f32 v77, 0xbe8c1d8e, v72 :: v_dual_add_f32 v14, v70, v14
	v_fmamk_f32 v70, v4, 0x3f4c4adb, v78
	s_delay_alu instid0(VALU_DEP_3) | instskip(SKIP_1) | instid1(VALU_DEP_3)
	v_dual_fmac_f32 v78, 0xbf4c4adb, v4 :: v_dual_add_f32 v7, v75, v7
	v_mul_f32_e32 v75, 0xbeb8f4ab, v74
	v_dual_add_f32 v9, v70, v9 :: v_dual_fmamk_f32 v70, v76, 0xbe8c1d8e, v73
	s_delay_alu instid0(VALU_DEP_2) | instskip(SKIP_2) | instid1(VALU_DEP_4)
	v_dual_add_f32 v5, v78, v5 :: v_dual_fmamk_f32 v78, v76, 0x3f6eb680, v75
	v_fma_f32 v75, 0x3f6eb680, v76, -v75
	v_fma_f32 v73, 0xbe8c1d8e, v76, -v73
	v_add_f32_e32 v10, v70, v10
	v_fmamk_f32 v70, v4, 0xbf763a35, v77
	v_fmac_f32_e32 v77, 0x3f763a35, v4
	v_add_f32_e32 v13, v75, v13
	v_add_f32_e32 v17, v78, v17
	s_delay_alu instid0(VALU_DEP_4) | instskip(NEXT) | instid1(VALU_DEP_4)
	v_add_f32_e32 v11, v70, v11
	v_add_f32_e32 v15, v77, v15
	v_mul_f32_e32 v77, 0xbf59a7d5, v72
	s_delay_alu instid0(VALU_DEP_1) | instskip(NEXT) | instid1(VALU_DEP_1)
	v_fmamk_f32 v75, v4, 0x3f06c442, v77
	v_dual_add_f32 v22, v75, v22 :: v_dual_mul_f32 v75, 0x3dbcf732, v72
	v_dual_add_f32 v12, v73, v12 :: v_dual_mul_f32 v73, 0xbf06c442, v74
	v_fmamk_f32 v70, v4, 0x3eb8f4ab, v79
	v_fmac_f32_e32 v79, 0xbeb8f4ab, v4
	v_mul_f32_e32 v78, 0x3f7ee86f, v74
	s_delay_alu instid0(VALU_DEP_2) | instskip(SKIP_2) | instid1(VALU_DEP_3)
	v_dual_fmac_f32 v77, 0xbf06c442, v4 :: v_dual_add_f32 v18, v79, v18
	v_mul_f32_e32 v79, 0x3f3d2fb0, v72
	v_add_f32_e32 v16, v70, v16
	v_dual_fmamk_f32 v70, v76, 0xbf59a7d5, v73 :: v_dual_add_f32 v23, v77, v23
	s_delay_alu instid0(VALU_DEP_1) | instskip(SKIP_2) | instid1(VALU_DEP_1)
	v_add_f32_e32 v19, v70, v19
	v_fma_f32 v70, 0xbf59a7d5, v76, -v73
	v_fmamk_f32 v73, v76, 0x3dbcf732, v78
	v_dual_add_f32 v21, v70, v21 :: v_dual_add_f32 v24, v73, v24
	v_fmamk_f32 v73, v4, 0xbf7ee86f, v75
	v_fmac_f32_e32 v75, 0x3f7ee86f, v4
	v_fma_f32 v77, 0x3dbcf732, v76, -v78
	s_delay_alu instid0(VALU_DEP_3) | instskip(NEXT) | instid1(VALU_DEP_3)
	v_add_f32_e32 v62, v73, v62
	v_dual_mul_f32 v70, 0xbf2c7751, v74 :: v_dual_add_f32 v27, v75, v27
	v_fmamk_f32 v73, v4, 0x3f2c7751, v79
	v_fmac_f32_e32 v79, 0xbf2c7751, v4
	v_mul_f32_e32 v75, 0xbe3c28d5, v74
	s_delay_alu instid0(VALU_DEP_4) | instskip(SKIP_2) | instid1(VALU_DEP_4)
	v_fmamk_f32 v78, v76, 0x3f3d2fb0, v70
	v_add_f32_e32 v20, v77, v20
	v_fma_f32 v70, 0x3f3d2fb0, v76, -v70
	v_dual_add_f32 v60, v73, v60 :: v_dual_fmamk_f32 v73, v76, 0xbf7ba420, v75
	v_mul_f32_e32 v77, 0xbf7ba420, v72
	s_delay_alu instid0(VALU_DEP_3) | instskip(SKIP_1) | instid1(VALU_DEP_4)
	v_dual_mul_f32 v74, 0x3f65296c, v74 :: v_dual_add_f32 v25, v70, v25
	v_mul_f32_e32 v72, 0x3ee437d1, v72
	v_add_f32_e32 v66, v73, v66
	s_delay_alu instid0(VALU_DEP_4) | instskip(SKIP_2) | instid1(VALU_DEP_3)
	v_fmamk_f32 v70, v4, 0x3e3c28d5, v77
	v_fma_f32 v73, 0xbf7ba420, v76, -v75
	v_fmac_f32_e32 v77, 0xbe3c28d5, v4
	v_dual_add_f32 v75, v232, v229 :: v_dual_add_f32 v26, v70, v26
	s_delay_alu instid0(VALU_DEP_3) | instskip(SKIP_1) | instid1(VALU_DEP_4)
	v_dual_fmamk_f32 v70, v76, 0x3ee437d1, v74 :: v_dual_add_f32 v63, v73, v63
	v_sub_f32_e32 v73, v225, v212
	v_dual_add_f32 v64, v79, v64 :: v_dual_add_f32 v65, v77, v65
	s_delay_alu instid0(VALU_DEP_3) | instskip(SKIP_1) | instid1(VALU_DEP_4)
	v_add_f32_e32 v67, v70, v67
	v_add_f32_e32 v61, v78, v61
	v_mul_f32_e32 v77, 0xbf06c442, v73
	v_fmamk_f32 v70, v4, 0xbf65296c, v72
	v_fmac_f32_e32 v72, 0x3f65296c, v4
	v_sub_f32_e32 v4, v232, v229
	v_add_f32_e32 v78, v225, v212
	s_delay_alu instid0(VALU_DEP_1) | instskip(NEXT) | instid1(VALU_DEP_1)
	v_dual_mul_f32 v79, 0xbf59a7d5, v78 :: v_dual_add_f32 v70, v70, v71
	v_fmamk_f32 v71, v4, 0x3f06c442, v79
	v_fmac_f32_e32 v79, 0xbf06c442, v4
	s_delay_alu instid0(VALU_DEP_2) | instskip(NEXT) | instid1(VALU_DEP_2)
	v_add_f32_e32 v9, v71, v9
	v_add_f32_e32 v5, v79, v5
	v_fma_f32 v74, 0x3ee437d1, v76, -v74
	v_fmamk_f32 v76, v75, 0xbf59a7d5, v77
	v_mul_f32_e32 v79, 0xbf1a4643, v78
	s_delay_alu instid0(VALU_DEP_3) | instskip(NEXT) | instid1(VALU_DEP_3)
	v_add_f32_e32 v14, v74, v14
	v_add_f32_e32 v8, v76, v8
	v_fma_f32 v74, 0xbf59a7d5, v75, -v77
	v_mul_f32_e32 v76, 0x3ee437d1, v78
	v_mul_f32_e32 v77, 0xbf7ee86f, v73
	s_delay_alu instid0(VALU_DEP_2) | instskip(SKIP_1) | instid1(VALU_DEP_1)
	v_dual_add_f32 v7, v74, v7 :: v_dual_fmamk_f32 v74, v4, 0xbf65296c, v76
	v_fmac_f32_e32 v76, 0x3f65296c, v4
	v_add_f32_e32 v15, v76, v15
	s_delay_alu instid0(VALU_DEP_4) | instskip(NEXT) | instid1(VALU_DEP_1)
	v_fma_f32 v76, 0x3dbcf732, v75, -v77
	v_add_f32_e32 v13, v76, v13
	v_add_f32_e32 v6, v72, v6
	v_mul_f32_e32 v72, 0x3f65296c, v73
	v_mul_f32_e32 v76, 0x3f6eb680, v78
	s_delay_alu instid0(VALU_DEP_2) | instskip(NEXT) | instid1(VALU_DEP_1)
	v_fmamk_f32 v71, v75, 0x3ee437d1, v72
	v_add_f32_e32 v10, v71, v10
	v_fma_f32 v71, 0x3ee437d1, v75, -v72
	v_fmamk_f32 v72, v75, 0x3dbcf732, v77
	s_delay_alu instid0(VALU_DEP_2) | instskip(NEXT) | instid1(VALU_DEP_1)
	v_dual_add_f32 v12, v71, v12 :: v_dual_mul_f32 v71, 0x3f4c4adb, v73
	v_fmamk_f32 v77, v75, 0xbf1a4643, v71
	v_fma_f32 v71, 0xbf1a4643, v75, -v71
	s_delay_alu instid0(VALU_DEP_2) | instskip(NEXT) | instid1(VALU_DEP_2)
	v_add_f32_e32 v19, v77, v19
	v_add_f32_e32 v21, v71, v21
	v_fmamk_f32 v71, v4, 0x3eb8f4ab, v76
	v_fmac_f32_e32 v76, 0xbeb8f4ab, v4
	v_mul_f32_e32 v77, 0xbe3c28d5, v73
	s_delay_alu instid0(VALU_DEP_3) | instskip(SKIP_1) | instid1(VALU_DEP_4)
	v_add_f32_e32 v71, v71, v62
	v_dual_add_f32 v11, v74, v11 :: v_dual_mul_f32 v74, 0x3dbcf732, v78
	v_add_f32_e32 v27, v76, v27
	s_delay_alu instid0(VALU_DEP_4) | instskip(NEXT) | instid1(VALU_DEP_3)
	v_dual_add_f32 v17, v72, v17 :: v_dual_fmamk_f32 v62, v75, 0xbf7ba420, v77
	v_fmamk_f32 v72, v4, 0x3f7ee86f, v74
	v_fmac_f32_e32 v74, 0xbf7ee86f, v4
	s_delay_alu instid0(VALU_DEP_2) | instskip(NEXT) | instid1(VALU_DEP_2)
	v_add_f32_e32 v16, v72, v16
	v_add_f32_e32 v18, v74, v18
	v_fmamk_f32 v72, v4, 0xbf4c4adb, v79
	v_mul_f32_e32 v74, 0xbeb8f4ab, v73
	s_delay_alu instid0(VALU_DEP_2) | instskip(NEXT) | instid1(VALU_DEP_2)
	v_dual_fmac_f32 v79, 0x3f4c4adb, v4 :: v_dual_add_f32 v22, v72, v22
	v_fmamk_f32 v72, v75, 0x3f6eb680, v74
	s_delay_alu instid0(VALU_DEP_2) | instskip(NEXT) | instid1(VALU_DEP_2)
	v_add_f32_e32 v23, v79, v23
	v_dual_mul_f32 v79, 0x3f3d2fb0, v78 :: v_dual_add_f32 v24, v72, v24
	v_fma_f32 v72, 0x3f6eb680, v75, -v74
	v_mul_f32_e32 v74, 0xbf7ba420, v78
	v_add_f32_e32 v76, v62, v61
	v_fma_f32 v62, 0xbf7ba420, v75, -v77
	s_delay_alu instid0(VALU_DEP_4) | instskip(SKIP_2) | instid1(VALU_DEP_4)
	v_add_f32_e32 v20, v72, v20
	v_mul_f32_e32 v72, 0x3f2c7751, v73
	v_fmamk_f32 v61, v4, 0x3e3c28d5, v74
	v_dual_fmac_f32 v74, 0xbe3c28d5, v4 :: v_dual_add_f32 v25, v62, v25
	s_delay_alu instid0(VALU_DEP_2) | instskip(SKIP_4) | instid1(VALU_DEP_3)
	v_dual_mul_f32 v62, 0xbe8c1d8e, v78 :: v_dual_add_f32 v81, v61, v60
	v_fmamk_f32 v60, v4, 0xbf2c7751, v79
	v_fmac_f32_e32 v79, 0x3f2c7751, v4
	v_fmamk_f32 v77, v75, 0x3f3d2fb0, v72
	v_mul_f32_e32 v61, 0xbf763a35, v73
	v_add_f32_e32 v79, v79, v65
	s_delay_alu instid0(VALU_DEP_3) | instskip(SKIP_4) | instid1(VALU_DEP_1)
	v_dual_add_f32 v77, v77, v66 :: v_dual_fmamk_f32 v66, v4, 0x3f763a35, v62
	v_fmac_f32_e32 v62, 0xbf763a35, v4
	v_sub_f32_e32 v4, v228, v224
	v_add_f32_e32 v74, v74, v64
	v_fma_f32 v64, 0x3f3d2fb0, v75, -v72
	v_dual_add_f32 v78, v64, v63 :: v_dual_mul_f32 v63, 0xbf7ba420, v190
	v_add_f32_e32 v26, v60, v26
	v_fmamk_f32 v60, v75, 0xbe8c1d8e, v61
	v_fma_f32 v61, 0xbe8c1d8e, v75, -v61
	s_delay_alu instid0(VALU_DEP_2) | instskip(NEXT) | instid1(VALU_DEP_2)
	v_dual_add_f32 v185, v60, v67 :: v_dual_mul_f32 v60, 0xbe3c28d5, v184
	v_dual_add_f32 v14, v61, v14 :: v_dual_fmamk_f32 v61, v4, 0x3e3c28d5, v63
	v_fmac_f32_e32 v63, 0xbe3c28d5, v4
	s_delay_alu instid0(VALU_DEP_3) | instskip(NEXT) | instid1(VALU_DEP_3)
	v_fmamk_f32 v64, v189, 0xbf7ba420, v60
	v_add_f32_e32 v93, v61, v9
	v_mul_f32_e32 v9, 0x3f6eb680, v190
	v_add_f32_e32 v6, v62, v6
	s_delay_alu instid0(VALU_DEP_4) | instskip(SKIP_1) | instid1(VALU_DEP_1)
	v_add_f32_e32 v92, v64, v8
	v_fma_f32 v8, 0xbf7ba420, v189, -v60
	v_dual_add_f32 v61, v63, v5 :: v_dual_add_f32 v60, v8, v7
	v_fmamk_f32 v7, v4, 0xbeb8f4ab, v9
	v_fmac_f32_e32 v9, 0x3eb8f4ab, v4
	s_delay_alu instid0(VALU_DEP_2) | instskip(NEXT) | instid1(VALU_DEP_2)
	v_add_f32_e32 v89, v7, v11
	v_add_f32_e32 v63, v9, v15
	v_mul_f32_e32 v9, 0x3f3d2fb0, v190
	v_mul_f32_e32 v62, 0x3eb8f4ab, v184
	;; [unrolled: 1-line block ×3, first 2 shown]
	s_delay_alu instid0(VALU_DEP_2) | instskip(SKIP_1) | instid1(VALU_DEP_2)
	v_fmamk_f32 v64, v189, 0x3f6eb680, v62
	v_fma_f32 v8, 0x3f6eb680, v189, -v62
	v_add_f32_e32 v88, v64, v10
	s_delay_alu instid0(VALU_DEP_4)
	v_fmamk_f32 v64, v189, 0xbf59a7d5, v5
	v_fma_f32 v5, 0xbf59a7d5, v189, -v5
	v_mul_f32_e32 v10, 0xbf59a7d5, v190
	v_add_f32_e32 v62, v8, v12
	v_mul_f32_e32 v8, 0x3f2c7751, v184
	v_add_f32_e32 v90, v64, v17
	v_dual_add_f32 v64, v5, v13 :: v_dual_fmamk_f32 v5, v4, 0xbf2c7751, v9
	v_fmamk_f32 v7, v4, 0x3f06c442, v10
	s_delay_alu instid0(VALU_DEP_2) | instskip(NEXT) | instid1(VALU_DEP_2)
	v_add_f32_e32 v85, v5, v22
	v_dual_add_f32 v188, v66, v70 :: v_dual_add_f32 v91, v7, v16
	v_fmamk_f32 v7, v189, 0x3f3d2fb0, v8
	v_mul_f32_e32 v5, 0xbf4c4adb, v184
	v_fma_f32 v8, 0x3f3d2fb0, v189, -v8
	s_delay_alu instid0(VALU_DEP_3) | instskip(SKIP_1) | instid1(VALU_DEP_3)
	v_dual_add_f32 v84, v7, v19 :: v_dual_mul_f32 v7, 0xbf1a4643, v190
	v_fmac_f32_e32 v10, 0xbf06c442, v4
	v_dual_add_f32 v66, v8, v21 :: v_dual_fmac_f32 v9, 0x3f2c7751, v4
	s_delay_alu instid0(VALU_DEP_3) | instskip(NEXT) | instid1(VALU_DEP_3)
	v_fmamk_f32 v11, v4, 0x3f4c4adb, v7
	v_dual_add_f32 v65, v10, v18 :: v_dual_fmamk_f32 v10, v189, 0xbf1a4643, v5
	v_fma_f32 v5, 0xbf1a4643, v189, -v5
	s_delay_alu instid0(VALU_DEP_4) | instskip(NEXT) | instid1(VALU_DEP_4)
	v_add_f32_e32 v67, v9, v23
	v_add_f32_e32 v87, v11, v71
	s_delay_alu instid0(VALU_DEP_4) | instskip(SKIP_3) | instid1(VALU_DEP_4)
	v_dual_add_f32 v9, v187, v94 :: v_dual_add_f32 v86, v10, v24
	v_mul_f32_e32 v10, 0x3ee437d1, v190
	v_add_f32_e32 v8, v186, v95
	v_add_f32_e32 v70, v5, v20
	;; [unrolled: 1-line block ×3, first 2 shown]
	v_fmac_f32_e32 v7, 0xbf4c4adb, v4
	v_fmamk_f32 v11, v4, 0xbf65296c, v10
	v_add_f32_e32 v8, v8, v114
	s_delay_alu instid0(VALU_DEP_3) | instskip(NEXT) | instid1(VALU_DEP_3)
	v_dual_fmac_f32 v10, 0x3f65296c, v4 :: v_dual_add_f32 v71, v7, v27
	v_add_f32_e32 v81, v11, v81
	s_delay_alu instid0(VALU_DEP_3) | instskip(NEXT) | instid1(VALU_DEP_3)
	v_dual_add_f32 v5, v8, v109 :: v_dual_add_f32 v8, v9, v111
	v_add_f32_e32 v73, v10, v74
	v_mul_f32_e32 v9, 0x3f65296c, v184
	s_delay_alu instid0(VALU_DEP_3) | instskip(NEXT) | instid1(VALU_DEP_2)
	v_add_f32_e32 v5, v5, v104
	v_fmamk_f32 v7, v189, 0x3ee437d1, v9
	v_fma_f32 v9, 0x3ee437d1, v189, -v9
	s_delay_alu instid0(VALU_DEP_2) | instskip(NEXT) | instid1(VALU_DEP_2)
	v_dual_add_f32 v5, v5, v102 :: v_dual_add_f32 v80, v7, v76
	v_add_f32_e32 v72, v9, v25
	s_delay_alu instid0(VALU_DEP_2) | instskip(SKIP_1) | instid1(VALU_DEP_2)
	v_add_f32_e32 v5, v5, v98
	v_mul_f32_e32 v9, 0xbe8c1d8e, v190
	v_add_f32_e32 v5, v5, v2
	s_delay_alu instid0(VALU_DEP_1) | instskip(NEXT) | instid1(VALU_DEP_1)
	v_add_f32_e32 v5, v5, v3
	v_dual_add_f32 v8, v8, v107 :: v_dual_add_f32 v5, v5, v97
	s_delay_alu instid0(VALU_DEP_1) | instskip(NEXT) | instid1(VALU_DEP_1)
	v_dual_add_f32 v8, v8, v106 :: v_dual_add_f32 v5, v5, v103
	v_add_f32_e32 v7, v8, v100
	v_mul_f32_e32 v8, 0xbf763a35, v184
	v_fmamk_f32 v10, v4, 0x3f763a35, v9
	v_fmac_f32_e32 v9, 0xbf763a35, v4
	v_add_f32_e32 v5, v5, v108
	v_add_f32_e32 v7, v7, v101
	v_fmamk_f32 v11, v189, 0xbe8c1d8e, v8
	v_fma_f32 v8, 0xbe8c1d8e, v189, -v8
	v_add_f32_e32 v83, v10, v26
	v_add_f32_e32 v5, v5, v112
	;; [unrolled: 1-line block ×4, first 2 shown]
	v_dual_add_f32 v74, v8, v78 :: v_dual_add_f32 v75, v9, v79
	v_mul_f32_e32 v11, 0x3dbcf732, v190
	s_delay_alu instid0(VALU_DEP_4) | instskip(NEXT) | instid1(VALU_DEP_1)
	v_add_f32_e32 v7, v7, v99
	v_dual_add_f32 v7, v7, v105 :: v_dual_mul_f32 v10, 0x3f7ee86f, v184
	s_delay_alu instid0(VALU_DEP_1) | instskip(NEXT) | instid1(VALU_DEP_2)
	v_dual_add_f32 v184, v5, v115 :: v_dual_add_f32 v7, v7, v110
	v_fmamk_f32 v8, v189, 0x3dbcf732, v10
	v_fma_f32 v9, 0x3dbcf732, v189, -v10
	s_delay_alu instid0(VALU_DEP_3)
	v_add_f32_e32 v5, v184, v118
	v_sub_f32_e32 v10, v95, v122
	v_add_f32_e32 v7, v7, v113
	v_add_f32_e32 v76, v8, v185
	v_fmamk_f32 v8, v4, 0xbf7ee86f, v11
	v_dual_fmac_f32 v11, 0x3f7ee86f, v4 :: v_dual_sub_f32 v4, v94, v123
	s_delay_alu instid0(VALU_DEP_4) | instskip(NEXT) | instid1(VALU_DEP_3)
	v_dual_add_f32 v185, v7, v116 :: v_dual_add_f32 v78, v9, v14
	v_add_f32_e32 v77, v8, v188
	s_delay_alu instid0(VALU_DEP_3) | instskip(NEXT) | instid1(VALU_DEP_3)
	v_dual_add_f32 v79, v11, v6 :: v_dual_add_f32 v8, v94, v123
	v_dual_add_f32 v6, v185, v119 :: v_dual_add_f32 v7, v95, v122
	v_mul_f32_e32 v9, 0xbeb8f4ab, v4
	v_mul_f32_e32 v188, 0xbf06c442, v4
	s_delay_alu instid0(VALU_DEP_4) | instskip(NEXT) | instid1(VALU_DEP_4)
	v_mul_f32_e32 v26, 0xbe8c1d8e, v8
	v_dual_add_f32 v6, v6, v121 :: v_dual_mul_f32 v21, 0x3dbcf732, v8
	s_delay_alu instid0(VALU_DEP_4)
	v_dual_add_f32 v5, v5, v120 :: v_dual_fmamk_f32 v12, v7, 0x3f6eb680, v9
	v_fma_f32 v9, 0x3f6eb680, v7, -v9
	v_mul_f32_e32 v14, 0x3f3d2fb0, v8
	v_mul_f32_e32 v17, 0x3ee437d1, v8
	v_fmamk_f32 v24, v10, 0x3f7ee86f, v21
	v_dual_mul_f32 v11, 0x3f6eb680, v8 :: v_dual_add_f32 v94, v5, v122
	v_add_f32_e32 v9, v186, v9
	v_mul_f32_e32 v5, 0xbf2c7751, v4
	s_delay_alu instid0(VALU_DEP_4)
	v_dual_fmamk_f32 v19, v10, 0x3f65296c, v17 :: v_dual_add_f32 v24, v187, v24
	v_fmamk_f32 v16, v10, 0x3f2c7751, v14
	v_fmac_f32_e32 v14, 0xbf2c7751, v10
	v_mul_f32_e32 v15, 0xbf65296c, v4
	v_add_f32_e32 v95, v6, v123
	v_mul_f32_e32 v23, 0xbf763a35, v4
	s_delay_alu instid0(VALU_DEP_4) | instskip(NEXT) | instid1(VALU_DEP_4)
	v_dual_mul_f32 v123, 0xbf1a4643, v8 :: v_dual_add_f32 v14, v187, v14
	v_fmamk_f32 v18, v7, 0x3ee437d1, v15
	v_fma_f32 v15, 0x3ee437d1, v7, -v15
	v_dual_mul_f32 v189, 0xbf59a7d5, v8 :: v_dual_fmamk_f32 v190, v7, 0xbf59a7d5, v188
	v_mul_f32_e32 v8, 0xbf7ba420, v8
	s_delay_alu instid0(VALU_DEP_4) | instskip(NEXT) | instid1(VALU_DEP_4)
	v_dual_fmamk_f32 v13, v7, 0x3f3d2fb0, v5 :: v_dual_add_f32 v18, v186, v18
	v_add_f32_e32 v15, v186, v15
	v_fma_f32 v5, 0x3f3d2fb0, v7, -v5
	s_delay_alu instid0(VALU_DEP_4)
	v_fmamk_f32 v194, v10, 0x3e3c28d5, v8
	v_fmamk_f32 v185, v10, 0x3f4c4adb, v123
	;; [unrolled: 1-line block ×3, first 2 shown]
	v_fmac_f32_e32 v26, 0xbf763a35, v10
	v_dual_fmamk_f32 v25, v7, 0xbe8c1d8e, v23 :: v_dual_add_f32 v190, v186, v190
	v_fma_f32 v23, 0xbe8c1d8e, v7, -v23
	v_dual_add_f32 v5, v186, v5 :: v_dual_mul_f32 v20, 0xbf7ee86f, v4
	v_add_f32_e32 v185, v187, v185
	v_dual_mul_f32 v27, 0xbf4c4adb, v4 :: v_dual_add_f32 v122, v187, v122
	s_delay_alu instid0(VALU_DEP_4) | instskip(NEXT) | instid1(VALU_DEP_2)
	v_dual_add_f32 v23, v186, v23 :: v_dual_mul_f32 v4, 0xbe3c28d5, v4
	v_dual_add_f32 v25, v186, v25 :: v_dual_fmamk_f32 v184, v7, 0xbf1a4643, v27
	v_fma_f32 v27, 0xbf1a4643, v7, -v27
	v_fmamk_f32 v22, v7, 0x3dbcf732, v20
	s_delay_alu instid0(VALU_DEP_4)
	v_fmamk_f32 v192, v7, 0xbf7ba420, v4
	v_fma_f32 v20, 0x3dbcf732, v7, -v20
	v_fma_f32 v4, 0xbf7ba420, v7, -v4
	v_add_f32_e32 v27, v186, v27
	v_fma_f32 v188, 0xbf59a7d5, v7, -v188
	v_add_f32_e32 v7, v117, v121
	v_dual_add_f32 v117, v114, v120 :: v_dual_fmac_f32 v8, 0xbe3c28d5, v10
	v_fmamk_f32 v191, v10, 0x3f06c442, v189
	v_dual_mul_f32 v121, 0xbf2c7751, v193 :: v_dual_add_f32 v4, v186, v4
	v_fmamk_f32 v6, v10, 0x3eb8f4ab, v11
	v_dual_add_f32 v12, v186, v12 :: v_dual_fmac_f32 v11, 0xbeb8f4ab, v10
	v_dual_fmac_f32 v17, 0xbf65296c, v10 :: v_dual_add_f32 v20, v186, v20
	v_dual_fmac_f32 v21, 0xbf7ee86f, v10 :: v_dual_add_f32 v184, v186, v184
	v_add_f32_e32 v26, v187, v26
	v_dual_fmac_f32 v123, 0xbf4c4adb, v10 :: v_dual_add_f32 v188, v186, v188
	v_dual_fmac_f32 v189, 0xbf06c442, v10 :: v_dual_sub_f32 v10, v114, v120
	v_add_f32_e32 v120, v187, v194
	v_fmamk_f32 v194, v117, 0x3f3d2fb0, v121
	v_add_f32_e32 v8, v187, v8
	v_add_f32_e32 v191, v187, v191
	;; [unrolled: 1-line block ×5, first 2 shown]
	v_dual_add_f32 v13, v186, v13 :: v_dual_add_f32 v16, v187, v16
	v_dual_add_f32 v17, v187, v17 :: v_dual_add_f32 v22, v186, v22
	v_add_f32_e32 v21, v187, v21
	v_dual_add_f32 v123, v187, v123 :: v_dual_add_f32 v192, v186, v192
	v_add_f32_e32 v189, v187, v189
	v_dual_mul_f32 v187, 0xbf7ee86f, v193 :: v_dual_add_f32 v12, v194, v12
	v_fma_f32 v121, 0x3f3d2fb0, v117, -v121
	v_mul_f32_e32 v194, 0x3dbcf732, v7
	s_delay_alu instid0(VALU_DEP_2) | instskip(NEXT) | instid1(VALU_DEP_2)
	v_dual_mul_f32 v114, 0x3f3d2fb0, v7 :: v_dual_add_f32 v9, v121, v9
	v_fmamk_f32 v121, v10, 0x3f7ee86f, v194
	s_delay_alu instid0(VALU_DEP_1) | instskip(NEXT) | instid1(VALU_DEP_1)
	v_dual_mul_f32 v195, 0xbf1a4643, v7 :: v_dual_add_f32 v16, v121, v16
	v_fmamk_f32 v121, v10, 0x3f4c4adb, v195
	s_delay_alu instid0(VALU_DEP_4) | instskip(SKIP_1) | instid1(VALU_DEP_2)
	v_fmamk_f32 v186, v10, 0x3f2c7751, v114
	v_fmac_f32_e32 v195, 0xbf4c4adb, v10
	v_dual_add_f32 v19, v121, v19 :: v_dual_add_f32 v6, v186, v6
	v_fmamk_f32 v186, v117, 0x3dbcf732, v187
	s_delay_alu instid0(VALU_DEP_1) | instskip(NEXT) | instid1(VALU_DEP_1)
	v_dual_fmac_f32 v114, 0xbf2c7751, v10 :: v_dual_add_f32 v13, v186, v13
	v_dual_add_f32 v11, v114, v11 :: v_dual_mul_f32 v114, 0xbf4c4adb, v193
	v_fma_f32 v186, 0x3dbcf732, v117, -v187
	s_delay_alu instid0(VALU_DEP_2) | instskip(NEXT) | instid1(VALU_DEP_2)
	v_fmamk_f32 v187, v117, 0xbf1a4643, v114
	v_add_f32_e32 v5, v186, v5
	v_fma_f32 v114, 0xbf1a4643, v117, -v114
	v_fmac_f32_e32 v194, 0xbf7ee86f, v10
	s_delay_alu instid0(VALU_DEP_4) | instskip(NEXT) | instid1(VALU_DEP_3)
	v_dual_add_f32 v18, v187, v18 :: v_dual_mul_f32 v187, 0xbf7ba420, v7
	v_add_f32_e32 v15, v114, v15
	s_delay_alu instid0(VALU_DEP_3) | instskip(SKIP_1) | instid1(VALU_DEP_4)
	v_add_f32_e32 v14, v194, v14
	v_mul_f32_e32 v186, 0xbe3c28d5, v193
	v_dual_add_f32 v17, v195, v17 :: v_dual_fmamk_f32 v114, v10, 0x3e3c28d5, v187
	v_mul_f32_e32 v194, 0x3f06c442, v193
	v_fmac_f32_e32 v187, 0xbe3c28d5, v10
	s_delay_alu instid0(VALU_DEP_4) | instskip(NEXT) | instid1(VALU_DEP_4)
	v_fmamk_f32 v121, v117, 0xbf7ba420, v186
	v_dual_mul_f32 v195, 0xbe8c1d8e, v7 :: v_dual_add_f32 v24, v114, v24
	s_delay_alu instid0(VALU_DEP_2) | instskip(SKIP_2) | instid1(VALU_DEP_2)
	v_dual_add_f32 v21, v187, v21 :: v_dual_add_f32 v22, v121, v22
	v_fma_f32 v121, 0xbf7ba420, v117, -v186
	v_fma_f32 v187, 0xbf59a7d5, v117, -v194
	v_dual_add_f32 v20, v121, v20 :: v_dual_mul_f32 v121, 0x3f763a35, v193
	s_delay_alu instid0(VALU_DEP_2) | instskip(SKIP_2) | instid1(VALU_DEP_4)
	v_dual_add_f32 v23, v187, v23 :: v_dual_fmamk_f32 v114, v117, 0xbf59a7d5, v194
	v_mul_f32_e32 v186, 0xbf59a7d5, v7
	v_mul_f32_e32 v187, 0x3ee437d1, v7
	v_fmamk_f32 v194, v117, 0xbe8c1d8e, v121
	v_fma_f32 v121, 0xbe8c1d8e, v117, -v121
	v_add_f32_e32 v25, v114, v25
	v_fmamk_f32 v114, v10, 0xbf06c442, v186
	v_mul_f32_e32 v7, 0x3f6eb680, v7
	s_delay_alu instid0(VALU_DEP_4) | instskip(SKIP_1) | instid1(VALU_DEP_4)
	v_add_f32_e32 v27, v121, v27
	v_fmamk_f32 v121, v10, 0xbf65296c, v187
	v_add_f32_e32 v114, v114, v122
	v_fmac_f32_e32 v186, 0x3f06c442, v10
	v_add_f32_e32 v122, v194, v184
	s_delay_alu instid0(VALU_DEP_4) | instskip(SKIP_1) | instid1(VALU_DEP_4)
	v_dual_fmamk_f32 v184, v10, 0xbf763a35, v195 :: v_dual_add_f32 v121, v121, v191
	v_fmac_f32_e32 v187, 0x3f65296c, v10
	v_add_f32_e32 v26, v186, v26
	v_mul_f32_e32 v186, 0x3f65296c, v193
	s_delay_alu instid0(VALU_DEP_4) | instskip(NEXT) | instid1(VALU_DEP_4)
	v_dual_add_f32 v184, v184, v185 :: v_dual_fmac_f32 v195, 0x3f763a35, v10
	v_add_f32_e32 v187, v187, v189
	s_delay_alu instid0(VALU_DEP_3) | instskip(SKIP_3) | instid1(VALU_DEP_3)
	v_fmamk_f32 v185, v117, 0x3ee437d1, v186
	v_fma_f32 v186, 0x3ee437d1, v117, -v186
	v_mul_f32_e32 v193, 0x3eb8f4ab, v193
	v_add_f32_e32 v123, v195, v123
	v_dual_add_f32 v185, v185, v190 :: v_dual_add_f32 v186, v186, v188
	s_delay_alu instid0(VALU_DEP_3) | instskip(SKIP_3) | instid1(VALU_DEP_4)
	v_fmamk_f32 v190, v117, 0x3f6eb680, v193
	v_dual_sub_f32 v188, v111, v119 :: v_dual_add_f32 v191, v109, v118
	v_fma_f32 v117, 0x3f6eb680, v117, -v193
	v_add_f32_e32 v111, v111, v119
	v_add_f32_e32 v189, v190, v192
	s_delay_alu instid0(VALU_DEP_4) | instskip(SKIP_3) | instid1(VALU_DEP_4)
	v_mul_f32_e32 v192, 0xbf65296c, v188
	v_fmamk_f32 v190, v10, 0xbeb8f4ab, v7
	v_fmac_f32_e32 v7, 0x3eb8f4ab, v10
	v_sub_f32_e32 v10, v109, v118
	v_dual_add_f32 v4, v117, v4 :: v_dual_fmamk_f32 v109, v191, 0x3ee437d1, v192
	s_delay_alu instid0(VALU_DEP_3) | instskip(SKIP_2) | instid1(VALU_DEP_4)
	v_dual_mul_f32 v118, 0x3ee437d1, v111 :: v_dual_add_f32 v7, v7, v8
	v_add_f32_e32 v119, v190, v120
	v_fma_f32 v117, 0x3ee437d1, v191, -v192
	v_add_f32_e32 v8, v109, v12
	s_delay_alu instid0(VALU_DEP_4) | instskip(SKIP_3) | instid1(VALU_DEP_3)
	v_fmamk_f32 v12, v10, 0x3f65296c, v118
	v_fmac_f32_e32 v118, 0xbf65296c, v10
	v_mul_f32_e32 v109, 0xbf4c4adb, v188
	v_dual_mul_f32 v120, 0xbf1a4643, v111 :: v_dual_add_f32 v9, v117, v9
	v_dual_add_f32 v6, v12, v6 :: v_dual_add_f32 v11, v118, v11
	s_delay_alu instid0(VALU_DEP_3) | instskip(NEXT) | instid1(VALU_DEP_3)
	v_fmamk_f32 v12, v191, 0xbf1a4643, v109
	v_fmamk_f32 v117, v10, 0x3f4c4adb, v120
	v_mul_f32_e32 v190, 0xbe8c1d8e, v111
	s_delay_alu instid0(VALU_DEP_3) | instskip(SKIP_1) | instid1(VALU_DEP_1)
	v_add_f32_e32 v12, v12, v13
	v_fma_f32 v13, 0xbf1a4643, v191, -v109
	v_dual_mul_f32 v118, 0x3e3c28d5, v188 :: v_dual_add_f32 v5, v13, v5
	s_delay_alu instid0(VALU_DEP_1) | instskip(SKIP_2) | instid1(VALU_DEP_2)
	v_dual_add_f32 v16, v117, v16 :: v_dual_fmamk_f32 v109, v191, 0xbf7ba420, v118
	v_mul_f32_e32 v117, 0xbf7ba420, v111
	v_fma_f32 v118, 0xbf7ba420, v191, -v118
	v_dual_add_f32 v18, v109, v18 :: v_dual_fmamk_f32 v109, v10, 0xbe3c28d5, v117
	s_delay_alu instid0(VALU_DEP_2) | instskip(NEXT) | instid1(VALU_DEP_2)
	v_dual_fmac_f32 v120, 0xbf4c4adb, v10 :: v_dual_add_f32 v15, v118, v15
	v_add_f32_e32 v19, v109, v19
	s_delay_alu instid0(VALU_DEP_2) | instskip(SKIP_2) | instid1(VALU_DEP_3)
	v_dual_add_f32 v13, v120, v14 :: v_dual_mul_f32 v14, 0x3f763a35, v188
	v_fmamk_f32 v109, v10, 0xbf763a35, v190
	v_fmac_f32_e32 v117, 0x3e3c28d5, v10
	v_fmamk_f32 v120, v191, 0xbe8c1d8e, v14
	v_fma_f32 v14, 0xbe8c1d8e, v191, -v14
	s_delay_alu instid0(VALU_DEP_4) | instskip(NEXT) | instid1(VALU_DEP_4)
	v_add_f32_e32 v24, v109, v24
	v_dual_add_f32 v17, v117, v17 :: v_dual_fmac_f32 v190, 0x3f763a35, v10
	v_mul_f32_e32 v117, 0x3f2c7751, v188
	s_delay_alu instid0(VALU_DEP_4) | instskip(SKIP_1) | instid1(VALU_DEP_4)
	v_add_f32_e32 v14, v14, v20
	v_add_f32_e32 v22, v120, v22
	;; [unrolled: 1-line block ×3, first 2 shown]
	s_delay_alu instid0(VALU_DEP_4) | instskip(SKIP_1) | instid1(VALU_DEP_2)
	v_dual_mul_f32 v118, 0x3f3d2fb0, v111 :: v_dual_fmamk_f32 v109, v191, 0x3f3d2fb0, v117
	v_mul_f32_e32 v190, 0x3dbcf732, v111
	v_fmamk_f32 v21, v10, 0xbf2c7751, v118
	s_delay_alu instid0(VALU_DEP_3) | instskip(SKIP_4) | instid1(VALU_DEP_4)
	v_add_f32_e32 v25, v109, v25
	v_fma_f32 v109, 0x3f3d2fb0, v191, -v117
	v_fmac_f32_e32 v118, 0x3f2c7751, v10
	v_mul_f32_e32 v117, 0x3f6eb680, v111
	v_mul_f32_e32 v111, 0xbf59a7d5, v111
	v_dual_mul_f32 v120, 0xbeb8f4ab, v188 :: v_dual_add_f32 v23, v109, v23
	s_delay_alu instid0(VALU_DEP_4) | instskip(NEXT) | instid1(VALU_DEP_4)
	v_add_f32_e32 v26, v118, v26
	v_fmamk_f32 v118, v10, 0x3eb8f4ab, v117
	s_delay_alu instid0(VALU_DEP_1) | instskip(NEXT) | instid1(VALU_DEP_1)
	v_dual_fmac_f32 v117, 0xbeb8f4ab, v10 :: v_dual_add_f32 v118, v118, v184
	v_dual_fmamk_f32 v184, v10, 0x3f06c442, v111 :: v_dual_add_f32 v117, v117, v123
	v_mul_f32_e32 v123, 0xbf06c442, v188
	s_delay_alu instid0(VALU_DEP_2)
	v_add_f32_e32 v119, v184, v119
	v_dual_add_f32 v184, v104, v115 :: v_dual_add_f32 v21, v21, v114
	v_fmamk_f32 v114, v191, 0x3f6eb680, v120
	v_mul_f32_e32 v109, 0xbf7ee86f, v188
	v_fma_f32 v120, 0x3f6eb680, v191, -v120
	v_add_f32_e32 v188, v96, v99
	s_delay_alu instid0(VALU_DEP_4) | instskip(NEXT) | instid1(VALU_DEP_3)
	v_add_f32_e32 v114, v114, v122
	v_dual_fmamk_f32 v122, v191, 0x3dbcf732, v109 :: v_dual_add_f32 v27, v120, v27
	v_fma_f32 v109, 0x3dbcf732, v191, -v109
	s_delay_alu instid0(VALU_DEP_2) | instskip(NEXT) | instid1(VALU_DEP_2)
	v_add_f32_e32 v120, v122, v185
	v_dual_fmamk_f32 v122, v10, 0x3f7ee86f, v190 :: v_dual_add_f32 v109, v109, v186
	v_sub_f32_e32 v186, v107, v116
	v_add_f32_e32 v107, v107, v116
	s_delay_alu instid0(VALU_DEP_3) | instskip(NEXT) | instid1(VALU_DEP_3)
	v_dual_add_f32 v121, v122, v121 :: v_dual_fmamk_f32 v122, v191, 0xbf59a7d5, v123
	v_mul_f32_e32 v116, 0xbf7ee86f, v186
	v_fma_f32 v123, 0xbf59a7d5, v191, -v123
	v_fmac_f32_e32 v111, 0xbf06c442, v10
	v_fmac_f32_e32 v190, 0xbf7ee86f, v10
	v_add_f32_e32 v122, v122, v189
	v_sub_f32_e32 v10, v104, v115
	v_dual_mul_f32 v104, 0x3dbcf732, v107 :: v_dual_fmamk_f32 v115, v184, 0x3dbcf732, v116
	v_add_f32_e32 v7, v111, v7
	v_dual_mul_f32 v111, 0xbe3c28d5, v186 :: v_dual_add_f32 v4, v123, v4
	s_delay_alu instid0(VALU_DEP_3) | instskip(SKIP_3) | instid1(VALU_DEP_4)
	v_dual_fmamk_f32 v123, v10, 0x3f7ee86f, v104 :: v_dual_add_f32 v8, v115, v8
	v_fma_f32 v115, 0x3dbcf732, v184, -v116
	v_add_f32_e32 v185, v190, v187
	v_add_f32_e32 v189, v3, v97
	v_dual_add_f32 v6, v123, v6 :: v_dual_mul_f32 v123, 0xbf7ba420, v107
	s_delay_alu instid0(VALU_DEP_4) | instskip(NEXT) | instid1(VALU_DEP_2)
	v_add_f32_e32 v9, v115, v9
	v_fmamk_f32 v115, v10, 0x3e3c28d5, v123
	v_fmac_f32_e32 v123, 0xbe3c28d5, v10
	v_fmamk_f32 v116, v184, 0xbf7ba420, v111
	v_fma_f32 v111, 0xbf7ba420, v184, -v111
	s_delay_alu instid0(VALU_DEP_3) | instskip(NEXT) | instid1(VALU_DEP_3)
	v_dual_fmac_f32 v104, 0xbf7ee86f, v10 :: v_dual_add_f32 v13, v123, v13
	v_add_f32_e32 v12, v116, v12
	s_delay_alu instid0(VALU_DEP_3) | instskip(NEXT) | instid1(VALU_DEP_3)
	v_dual_mul_f32 v116, 0xbe8c1d8e, v107 :: v_dual_add_f32 v5, v111, v5
	v_add_f32_e32 v11, v104, v11
	s_delay_alu instid0(VALU_DEP_2) | instskip(NEXT) | instid1(VALU_DEP_1)
	v_fmamk_f32 v111, v10, 0xbf763a35, v116
	v_dual_mul_f32 v104, 0x3f763a35, v186 :: v_dual_add_f32 v19, v111, v19
	s_delay_alu instid0(VALU_DEP_1) | instskip(SKIP_2) | instid1(VALU_DEP_3)
	v_fmamk_f32 v187, v184, 0xbe8c1d8e, v104
	v_fma_f32 v104, 0xbe8c1d8e, v184, -v104
	v_fmac_f32_e32 v116, 0x3f763a35, v10
	v_dual_mul_f32 v111, 0x3f6eb680, v107 :: v_dual_add_f32 v18, v187, v18
	s_delay_alu instid0(VALU_DEP_3) | instskip(NEXT) | instid1(VALU_DEP_3)
	v_dual_add_f32 v16, v115, v16 :: v_dual_add_f32 v15, v104, v15
	v_dual_add_f32 v17, v116, v17 :: v_dual_mul_f32 v104, 0xbf65296c, v186
	s_delay_alu instid0(VALU_DEP_3) | instskip(NEXT) | instid1(VALU_DEP_1)
	v_fmamk_f32 v116, v10, 0xbeb8f4ab, v111
	v_dual_mul_f32 v115, 0x3eb8f4ab, v186 :: v_dual_add_f32 v24, v116, v24
	s_delay_alu instid0(VALU_DEP_1) | instskip(SKIP_2) | instid1(VALU_DEP_2)
	v_fmamk_f32 v123, v184, 0x3f6eb680, v115
	v_fma_f32 v115, 0x3f6eb680, v184, -v115
	v_mul_f32_e32 v116, 0x3ee437d1, v107
	v_add_f32_e32 v14, v115, v14
	s_delay_alu instid0(VALU_DEP_4) | instskip(NEXT) | instid1(VALU_DEP_3)
	v_dual_add_f32 v22, v123, v22 :: v_dual_fmamk_f32 v123, v184, 0x3ee437d1, v104
	v_fmamk_f32 v115, v10, 0x3f65296c, v116
	v_fma_f32 v104, 0x3ee437d1, v184, -v104
	s_delay_alu instid0(VALU_DEP_3) | instskip(SKIP_1) | instid1(VALU_DEP_3)
	v_dual_fmac_f32 v116, 0xbf65296c, v10 :: v_dual_add_f32 v25, v123, v25
	v_mul_f32_e32 v123, 0xbf59a7d5, v107
	v_add_f32_e32 v23, v104, v23
	s_delay_alu instid0(VALU_DEP_3) | instskip(SKIP_1) | instid1(VALU_DEP_4)
	v_dual_add_f32 v26, v116, v26 :: v_dual_add_f32 v21, v115, v21
	v_mul_f32_e32 v115, 0x3f4c4adb, v186
	v_fmamk_f32 v104, v10, 0x3f06c442, v123
	s_delay_alu instid0(VALU_DEP_1) | instskip(NEXT) | instid1(VALU_DEP_3)
	v_add_f32_e32 v104, v104, v118
	v_fmamk_f32 v118, v184, 0xbf1a4643, v115
	v_fmac_f32_e32 v111, 0x3eb8f4ab, v10
	v_fma_f32 v115, 0xbf1a4643, v184, -v115
	s_delay_alu instid0(VALU_DEP_3) | instskip(NEXT) | instid1(VALU_DEP_3)
	v_add_f32_e32 v118, v118, v120
	v_dual_add_f32 v20, v111, v20 :: v_dual_mul_f32 v111, 0xbf06c442, v186
	s_delay_alu instid0(VALU_DEP_3) | instskip(NEXT) | instid1(VALU_DEP_2)
	v_add_f32_e32 v109, v115, v109
	v_fmamk_f32 v187, v184, 0xbf59a7d5, v111
	v_fma_f32 v111, 0xbf59a7d5, v184, -v111
	s_delay_alu instid0(VALU_DEP_2) | instskip(SKIP_2) | instid1(VALU_DEP_4)
	v_add_f32_e32 v114, v187, v114
	v_fmac_f32_e32 v123, 0xbf06c442, v10
	v_mul_f32_e32 v116, 0xbf1a4643, v107
	v_add_f32_e32 v27, v111, v27
	v_mul_f32_e32 v107, 0x3f3d2fb0, v107
	s_delay_alu instid0(VALU_DEP_4) | instskip(SKIP_1) | instid1(VALU_DEP_1)
	v_add_f32_e32 v111, v123, v117
	v_mul_f32_e32 v117, 0x3f2c7751, v186
	v_fmamk_f32 v120, v184, 0x3f3d2fb0, v117
	v_fmamk_f32 v123, v10, 0xbf4c4adb, v116
	v_fmac_f32_e32 v116, 0x3f4c4adb, v10
	s_delay_alu instid0(VALU_DEP_1) | instskip(NEXT) | instid1(VALU_DEP_4)
	v_add_f32_e32 v115, v116, v185
	v_add_f32_e32 v116, v120, v122
	v_fmamk_f32 v122, v10, 0xbf2c7751, v107
	v_sub_f32_e32 v120, v106, v113
	v_add_f32_e32 v106, v106, v113
	v_add_f32_e32 v121, v123, v121
	;; [unrolled: 1-line block ×3, first 2 shown]
	v_dual_fmac_f32 v107, 0x3f2c7751, v10 :: v_dual_sub_f32 v10, v102, v112
	s_delay_alu instid0(VALU_DEP_4) | instskip(SKIP_3) | instid1(VALU_DEP_2)
	v_mul_f32_e32 v102, 0xbe8c1d8e, v106
	v_dual_mul_f32 v123, 0xbf763a35, v120 :: v_dual_add_f32 v112, v122, v119
	v_fma_f32 v117, 0x3f3d2fb0, v184, -v117
	v_dual_mul_f32 v122, 0xbf59a7d5, v106 :: v_dual_sub_f32 v185, v96, v99
	v_dual_add_f32 v4, v117, v4 :: v_dual_add_f32 v7, v107, v7
	v_fmamk_f32 v107, v10, 0x3f763a35, v102
	v_fmac_f32_e32 v102, 0xbf763a35, v10
	v_fmamk_f32 v119, v113, 0xbe8c1d8e, v123
	s_delay_alu instid0(VALU_DEP_3) | instskip(NEXT) | instid1(VALU_DEP_2)
	v_dual_mul_f32 v117, 0x3f06c442, v120 :: v_dual_add_f32 v6, v107, v6
	v_dual_add_f32 v11, v102, v11 :: v_dual_add_f32 v8, v119, v8
	v_fma_f32 v119, 0xbe8c1d8e, v113, -v123
	s_delay_alu instid0(VALU_DEP_1) | instskip(NEXT) | instid1(VALU_DEP_1)
	v_dual_mul_f32 v102, 0x3f2c7751, v120 :: v_dual_add_f32 v9, v119, v9
	v_fmamk_f32 v119, v113, 0x3f3d2fb0, v102
	v_fmamk_f32 v107, v113, 0xbf59a7d5, v117
	v_fma_f32 v102, 0x3f3d2fb0, v113, -v102
	s_delay_alu instid0(VALU_DEP_3) | instskip(NEXT) | instid1(VALU_DEP_3)
	v_add_f32_e32 v18, v119, v18
	v_dual_mul_f32 v119, 0x3ee437d1, v106 :: v_dual_add_f32 v12, v107, v12
	s_delay_alu instid0(VALU_DEP_3) | instskip(NEXT) | instid1(VALU_DEP_2)
	v_add_f32_e32 v15, v102, v15
	v_fmamk_f32 v102, v10, 0x3f65296c, v119
	v_mul_f32_e32 v123, 0x3f3d2fb0, v106
	v_fmac_f32_e32 v119, 0xbf65296c, v10
	v_fmamk_f32 v107, v10, 0xbf06c442, v122
	v_fmac_f32_e32 v122, 0x3f06c442, v10
	v_fma_f32 v117, 0xbf59a7d5, v113, -v117
	v_add_f32_e32 v24, v102, v24
	v_add_f32_e32 v20, v119, v20
	v_dual_add_f32 v16, v107, v16 :: v_dual_fmamk_f32 v107, v10, 0xbf2c7751, v123
	s_delay_alu instid0(VALU_DEP_4) | instskip(SKIP_2) | instid1(VALU_DEP_4)
	v_add_f32_e32 v5, v117, v5
	v_mul_f32_e32 v117, 0xbf65296c, v120
	v_fmac_f32_e32 v123, 0x3f2c7751, v10
	v_add_f32_e32 v19, v107, v19
	s_delay_alu instid0(VALU_DEP_3) | instskip(SKIP_1) | instid1(VALU_DEP_2)
	v_fmamk_f32 v107, v113, 0x3ee437d1, v117
	v_dual_add_f32 v13, v122, v13 :: v_dual_mul_f32 v122, 0xbe3c28d5, v120
	v_add_f32_e32 v22, v107, v22
	v_fma_f32 v107, 0x3ee437d1, v113, -v117
	s_delay_alu instid0(VALU_DEP_3) | instskip(SKIP_2) | instid1(VALU_DEP_4)
	v_dual_fmamk_f32 v102, v113, 0xbf7ba420, v122 :: v_dual_mul_f32 v117, 0xbf7ba420, v106
	v_add_f32_e32 v17, v123, v17
	v_fma_f32 v119, 0xbf7ba420, v113, -v122
	v_dual_add_f32 v14, v107, v14 :: v_dual_mul_f32 v107, 0x3f7ee86f, v120
	s_delay_alu instid0(VALU_DEP_4) | instskip(SKIP_2) | instid1(VALU_DEP_4)
	v_add_f32_e32 v25, v102, v25
	v_fmamk_f32 v102, v10, 0x3e3c28d5, v117
	v_fmac_f32_e32 v117, 0xbe3c28d5, v10
	v_dual_mul_f32 v123, 0x3dbcf732, v106 :: v_dual_fmamk_f32 v122, v113, 0x3dbcf732, v107
	v_add_f32_e32 v23, v119, v23
	s_delay_alu instid0(VALU_DEP_3) | instskip(NEXT) | instid1(VALU_DEP_3)
	v_dual_add_f32 v21, v102, v21 :: v_dual_add_f32 v26, v117, v26
	v_dual_mul_f32 v117, 0xbeb8f4ab, v120 :: v_dual_add_f32 v102, v122, v114
	s_delay_alu instid0(VALU_DEP_4) | instskip(SKIP_2) | instid1(VALU_DEP_3)
	v_fmamk_f32 v114, v10, 0xbf7ee86f, v123
	v_mul_f32_e32 v119, 0x3f6eb680, v106
	v_mul_f32_e32 v120, 0xbf4c4adb, v120
	v_dual_fmac_f32 v123, 0x3f7ee86f, v10 :: v_dual_add_f32 v104, v114, v104
	v_fmamk_f32 v114, v113, 0x3f6eb680, v117
	v_fma_f32 v117, 0x3f6eb680, v113, -v117
	v_mul_f32_e32 v106, 0xbf1a4643, v106
	s_delay_alu instid0(VALU_DEP_2) | instskip(SKIP_4) | instid1(VALU_DEP_4)
	v_dual_add_f32 v114, v114, v118 :: v_dual_add_f32 v109, v117, v109
	v_fma_f32 v107, 0x3dbcf732, v113, -v107
	v_dual_fmamk_f32 v118, v113, 0xbf1a4643, v120 :: v_dual_sub_f32 v117, v100, v110
	v_add_f32_e32 v100, v100, v110
	v_fma_f32 v110, 0xbf1a4643, v113, -v120
	v_add_f32_e32 v27, v107, v27
	v_fmamk_f32 v107, v10, 0x3eb8f4ab, v119
	v_add_f32_e32 v116, v118, v116
	v_fmamk_f32 v118, v10, 0x3f4c4adb, v106
	v_fmac_f32_e32 v119, 0xbeb8f4ab, v10
	s_delay_alu instid0(VALU_DEP_4) | instskip(SKIP_1) | instid1(VALU_DEP_3)
	v_dual_fmac_f32 v106, 0xbf4c4adb, v10 :: v_dual_add_f32 v107, v107, v121
	v_dual_mul_f32 v121, 0xbf4c4adb, v117 :: v_dual_sub_f32 v10, v98, v108
	v_add_f32_e32 v115, v119, v115
	v_add_f32_e32 v119, v98, v108
	s_delay_alu instid0(VALU_DEP_4) | instskip(SKIP_2) | instid1(VALU_DEP_4)
	v_dual_mul_f32 v108, 0xbf1a4643, v100 :: v_dual_add_f32 v7, v106, v7
	v_add_f32_e32 v4, v110, v4
	v_mul_f32_e32 v106, 0x3f763a35, v117
	v_fmamk_f32 v98, v119, 0xbf1a4643, v121
	v_add_f32_e32 v112, v118, v112
	v_mul_f32_e32 v118, 0xbf59a7d5, v100
	s_delay_alu instid0(VALU_DEP_3) | instskip(SKIP_3) | instid1(VALU_DEP_1)
	v_add_f32_e32 v8, v98, v8
	v_fmamk_f32 v98, v10, 0x3f4c4adb, v108
	v_fmac_f32_e32 v108, 0xbf4c4adb, v10
	v_mul_f32_e32 v113, 0xbe8c1d8e, v100
	v_dual_add_f32 v11, v108, v11 :: v_dual_fmamk_f32 v108, v10, 0xbf763a35, v113
	s_delay_alu instid0(VALU_DEP_4) | instskip(SKIP_2) | instid1(VALU_DEP_4)
	v_add_f32_e32 v6, v98, v6
	v_fma_f32 v110, 0xbf1a4643, v119, -v121
	v_fmamk_f32 v98, v119, 0xbe8c1d8e, v106
	v_dual_add_f32 v16, v108, v16 :: v_dual_add_f32 v111, v123, v111
	s_delay_alu instid0(VALU_DEP_3) | instskip(SKIP_1) | instid1(VALU_DEP_4)
	v_add_f32_e32 v9, v110, v9
	v_mul_f32_e32 v110, 0xbeb8f4ab, v117
	v_add_f32_e32 v12, v98, v12
	v_fma_f32 v98, 0xbe8c1d8e, v119, -v106
	v_mul_f32_e32 v108, 0x3f6eb680, v100
	s_delay_alu instid0(VALU_DEP_4) | instskip(SKIP_1) | instid1(VALU_DEP_4)
	v_fmamk_f32 v106, v119, 0x3f6eb680, v110
	v_fma_f32 v110, 0x3f6eb680, v119, -v110
	v_add_f32_e32 v5, v98, v5
	s_delay_alu instid0(VALU_DEP_2) | instskip(NEXT) | instid1(VALU_DEP_4)
	v_dual_mul_f32 v98, 0xbf06c442, v117 :: v_dual_add_f32 v15, v110, v15
	v_add_f32_e32 v18, v106, v18
	v_fmamk_f32 v106, v10, 0x3eb8f4ab, v108
	s_delay_alu instid0(VALU_DEP_1) | instskip(SKIP_3) | instid1(VALU_DEP_2)
	v_dual_mul_f32 v110, 0x3dbcf732, v100 :: v_dual_add_f32 v19, v106, v19
	v_fmamk_f32 v106, v10, 0x3f06c442, v118
	v_fmac_f32_e32 v113, 0x3f763a35, v10
	v_fmac_f32_e32 v108, 0xbeb8f4ab, v10
	v_dual_add_f32 v24, v106, v24 :: v_dual_add_f32 v13, v113, v13
	v_fmamk_f32 v113, v119, 0xbf59a7d5, v98
	v_fma_f32 v98, 0xbf59a7d5, v119, -v98
	s_delay_alu instid0(VALU_DEP_4) | instskip(SKIP_1) | instid1(VALU_DEP_4)
	v_add_f32_e32 v17, v108, v17
	v_mul_f32_e32 v108, 0x3f7ee86f, v117
	v_add_f32_e32 v22, v113, v22
	s_delay_alu instid0(VALU_DEP_4) | instskip(SKIP_1) | instid1(VALU_DEP_1)
	v_dual_add_f32 v14, v98, v14 :: v_dual_mul_f32 v113, 0xbf2c7751, v117
	v_fmamk_f32 v98, v10, 0xbf7ee86f, v110
	v_dual_fmac_f32 v110, 0x3f7ee86f, v10 :: v_dual_add_f32 v21, v98, v21
	s_delay_alu instid0(VALU_DEP_1) | instskip(NEXT) | instid1(VALU_DEP_4)
	v_add_f32_e32 v26, v110, v26
	v_fma_f32 v110, 0x3f3d2fb0, v119, -v113
	v_fmac_f32_e32 v118, 0xbf06c442, v10
	s_delay_alu instid0(VALU_DEP_2) | instskip(NEXT) | instid1(VALU_DEP_2)
	v_dual_fmamk_f32 v98, v119, 0x3f3d2fb0, v113 :: v_dual_add_f32 v27, v110, v27
	v_add_f32_e32 v20, v118, v20
	v_mul_f32_e32 v118, 0xbf7ba420, v100
	s_delay_alu instid0(VALU_DEP_3) | instskip(NEXT) | instid1(VALU_DEP_2)
	v_add_f32_e32 v98, v98, v102
	v_fmamk_f32 v110, v10, 0x3e3c28d5, v118
	v_fmamk_f32 v106, v119, 0x3dbcf732, v108
	s_delay_alu instid0(VALU_DEP_2) | instskip(NEXT) | instid1(VALU_DEP_2)
	v_dual_fmac_f32 v118, 0xbe3c28d5, v10 :: v_dual_add_f32 v107, v110, v107
	v_add_f32_e32 v25, v106, v25
	v_fma_f32 v106, 0x3dbcf732, v119, -v108
	v_mul_f32_e32 v108, 0x3f3d2fb0, v100
	s_delay_alu instid0(VALU_DEP_2) | instskip(SKIP_1) | instid1(VALU_DEP_3)
	v_dual_mul_f32 v100, 0x3ee437d1, v100 :: v_dual_add_f32 v23, v106, v23
	v_mul_f32_e32 v106, 0xbe3c28d5, v117
	v_fmamk_f32 v102, v10, 0x3f2c7751, v108
	v_fmac_f32_e32 v108, 0xbf2c7751, v10
	s_delay_alu instid0(VALU_DEP_2) | instskip(NEXT) | instid1(VALU_DEP_2)
	v_dual_fmamk_f32 v113, v119, 0xbf7ba420, v106 :: v_dual_add_f32 v102, v102, v104
	v_dual_add_f32 v104, v108, v111 :: v_dual_mul_f32 v111, 0x3f65296c, v117
	s_delay_alu instid0(VALU_DEP_2) | instskip(SKIP_1) | instid1(VALU_DEP_2)
	v_dual_add_f32 v108, v113, v114 :: v_dual_fmamk_f32 v113, v10, 0xbf65296c, v100
	v_fmac_f32_e32 v100, 0x3f65296c, v10
	v_dual_add_f32 v112, v113, v112 :: v_dual_add_f32 v113, v2, v103
	v_sub_f32_e32 v2, v2, v103
	v_sub_f32_e32 v114, v101, v105
	v_add_f32_e32 v101, v101, v105
	v_add_f32_e32 v7, v100, v7
	s_delay_alu instid0(VALU_DEP_3) | instskip(NEXT) | instid1(VALU_DEP_3)
	v_mul_f32_e32 v105, 0xbf06c442, v114
	v_mul_f32_e32 v10, 0xbf59a7d5, v101
	;; [unrolled: 1-line block ×3, first 2 shown]
	v_fmamk_f32 v110, v119, 0x3ee437d1, v111
	v_fma_f32 v111, 0x3ee437d1, v119, -v111
	s_delay_alu instid0(VALU_DEP_1) | instskip(NEXT) | instid1(VALU_DEP_1)
	v_dual_fmamk_f32 v103, v113, 0xbf59a7d5, v105 :: v_dual_add_f32 v4, v111, v4
	v_dual_fmamk_f32 v111, v2, 0x3f06c442, v10 :: v_dual_add_f32 v8, v103, v8
	v_fma_f32 v103, 0xbf59a7d5, v113, -v105
	v_fmac_f32_e32 v10, 0xbf06c442, v2
	v_dual_fmamk_f32 v105, v113, 0x3ee437d1, v100 :: v_dual_add_f32 v110, v110, v116
	v_fma_f32 v100, 0x3ee437d1, v113, -v100
	s_delay_alu instid0(VALU_DEP_3) | instskip(NEXT) | instid1(VALU_DEP_3)
	v_dual_add_f32 v9, v103, v9 :: v_dual_add_f32 v10, v10, v11
	v_add_f32_e32 v11, v105, v12
	v_mul_f32_e32 v105, 0x3dbcf732, v101
	s_delay_alu instid0(VALU_DEP_1) | instskip(NEXT) | instid1(VALU_DEP_1)
	v_dual_add_f32 v5, v100, v5 :: v_dual_fmamk_f32 v100, v2, 0x3f7ee86f, v105
	v_dual_add_f32 v19, v100, v19 :: v_dual_mul_f32 v100, 0xbf1a4643, v101
	v_dual_add_f32 v6, v111, v6 :: v_dual_mul_f32 v111, 0x3ee437d1, v101
	v_fma_f32 v106, 0xbf7ba420, v119, -v106
	s_delay_alu instid0(VALU_DEP_2) | instskip(SKIP_1) | instid1(VALU_DEP_3)
	v_fmamk_f32 v103, v2, 0xbf65296c, v111
	v_mul_f32_e32 v12, 0xbf7ee86f, v114
	v_add_f32_e32 v106, v106, v109
	v_add_f32_e32 v109, v118, v115
	s_delay_alu instid0(VALU_DEP_3) | instskip(SKIP_3) | instid1(VALU_DEP_4)
	v_fmamk_f32 v115, v113, 0x3dbcf732, v12
	v_fmac_f32_e32 v111, 0x3f65296c, v2
	v_fma_f32 v12, 0x3dbcf732, v113, -v12
	v_fmac_f32_e32 v105, 0xbf7ee86f, v2
	v_add_f32_e32 v18, v115, v18
	s_delay_alu instid0(VALU_DEP_3) | instskip(NEXT) | instid1(VALU_DEP_3)
	v_dual_add_f32 v13, v111, v13 :: v_dual_add_f32 v12, v12, v15
	v_add_f32_e32 v15, v105, v17
	v_dual_mul_f32 v17, 0xbeb8f4ab, v114 :: v_dual_add_f32 v16, v103, v16
	v_mul_f32_e32 v103, 0x3f4c4adb, v114
	v_fmamk_f32 v105, v2, 0xbf4c4adb, v100
	s_delay_alu instid0(VALU_DEP_2) | instskip(SKIP_1) | instid1(VALU_DEP_3)
	v_fmamk_f32 v111, v113, 0xbf1a4643, v103
	v_fma_f32 v103, 0xbf1a4643, v113, -v103
	v_dual_add_f32 v24, v105, v24 :: v_dual_mul_f32 v105, 0x3f6eb680, v101
	s_delay_alu instid0(VALU_DEP_3) | instskip(NEXT) | instid1(VALU_DEP_2)
	v_dual_add_f32 v22, v111, v22 :: v_dual_fmamk_f32 v111, v113, 0x3f6eb680, v17
	v_dual_add_f32 v14, v103, v14 :: v_dual_fmamk_f32 v103, v2, 0x3eb8f4ab, v105
	v_fma_f32 v17, 0x3f6eb680, v113, -v17
	v_fmac_f32_e32 v105, 0xbeb8f4ab, v2
	s_delay_alu instid0(VALU_DEP_4) | instskip(SKIP_3) | instid1(VALU_DEP_3)
	v_add_f32_e32 v25, v111, v25
	v_mul_f32_e32 v111, 0xbf7ba420, v101
	v_add_f32_e32 v21, v103, v21
	v_add_f32_e32 v17, v17, v23
	v_dual_add_f32 v23, v105, v26 :: v_dual_fmamk_f32 v26, v2, 0x3e3c28d5, v111
	v_fmac_f32_e32 v111, 0xbe3c28d5, v2
	s_delay_alu instid0(VALU_DEP_2) | instskip(SKIP_1) | instid1(VALU_DEP_3)
	v_add_f32_e32 v26, v26, v102
	v_mul_f32_e32 v102, 0x3f3d2fb0, v101
	v_dual_add_f32 v118, v111, v104 :: v_dual_mul_f32 v101, 0xbe8c1d8e, v101
	s_delay_alu instid0(VALU_DEP_2) | instskip(SKIP_1) | instid1(VALU_DEP_1)
	v_fmamk_f32 v104, v2, 0xbf2c7751, v102
	v_fmac_f32_e32 v102, 0x3f2c7751, v2
	v_dual_fmac_f32 v100, 0x3f4c4adb, v2 :: v_dual_add_f32 v123, v102, v109
	s_delay_alu instid0(VALU_DEP_1) | instskip(SKIP_1) | instid1(VALU_DEP_1)
	v_add_f32_e32 v20, v100, v20
	v_mul_f32_e32 v100, 0xbe3c28d5, v114
	v_fmamk_f32 v115, v113, 0xbf7ba420, v100
	v_fma_f32 v100, 0xbf7ba420, v113, -v100
	s_delay_alu instid0(VALU_DEP_2) | instskip(NEXT) | instid1(VALU_DEP_2)
	v_add_f32_e32 v115, v115, v98
	v_dual_mul_f32 v98, 0x3f2c7751, v114 :: v_dual_add_f32 v27, v100, v27
	s_delay_alu instid0(VALU_DEP_1) | instskip(SKIP_1) | instid1(VALU_DEP_1)
	v_fmamk_f32 v103, v113, 0x3f3d2fb0, v98
	v_fma_f32 v98, 0x3f3d2fb0, v113, -v98
	v_dual_add_f32 v119, v103, v108 :: v_dual_add_f32 v122, v98, v106
	v_fmamk_f32 v98, v2, 0x3f763a35, v101
	v_dual_fmac_f32 v101, 0xbf763a35, v2 :: v_dual_sub_f32 v2, v3, v97
	v_mul_f32_e32 v3, 0xbf7ba420, v188
	v_mul_f32_e32 v96, 0xbe3c28d5, v185
	s_delay_alu instid0(VALU_DEP_3) | instskip(NEXT) | instid1(VALU_DEP_3)
	v_dual_add_f32 v190, v98, v112 :: v_dual_add_f32 v7, v101, v7
	v_fmamk_f32 v98, v2, 0x3e3c28d5, v3
	v_fmac_f32_e32 v3, 0xbe3c28d5, v2
	s_delay_alu instid0(VALU_DEP_4) | instskip(SKIP_1) | instid1(VALU_DEP_2)
	v_fmamk_f32 v97, v189, 0xbf7ba420, v96
	v_mul_f32_e32 v99, 0x3eb8f4ab, v185
	v_dual_add_f32 v187, v98, v6 :: v_dual_add_f32 v186, v97, v8
	v_fma_f32 v8, 0xbf7ba420, v189, -v96
	v_add_f32_e32 v97, v3, v10
	v_dual_add_f32 v121, v104, v107 :: v_dual_mul_f32 v10, 0xbf59a7d5, v188
	v_mul_f32_e32 v3, 0xbf06c442, v185
	s_delay_alu instid0(VALU_DEP_4) | instskip(SKIP_1) | instid1(VALU_DEP_3)
	v_add_f32_e32 v96, v8, v9
	v_fma_f32 v8, 0x3f6eb680, v189, -v99
	v_fmamk_f32 v9, v189, 0xbf59a7d5, v3
	v_fma_f32 v3, 0xbf59a7d5, v189, -v3
	s_delay_alu instid0(VALU_DEP_3) | instskip(SKIP_3) | instid1(VALU_DEP_4)
	v_dual_add_f32 v98, v8, v5 :: v_dual_fmamk_f32 v5, v2, 0x3f06c442, v10
	v_mul_f32_e32 v100, 0xbf763a35, v114
	v_fmac_f32_e32 v10, 0xbf06c442, v2
	v_fmamk_f32 v6, v189, 0x3f6eb680, v99
	v_dual_mul_f32 v8, 0x3f3d2fb0, v188 :: v_dual_add_f32 v107, v5, v19
	s_delay_alu instid0(VALU_DEP_4)
	v_fmamk_f32 v103, v113, 0xbe8c1d8e, v100
	v_fma_f32 v100, 0xbe8c1d8e, v113, -v100
	v_add_f32_e32 v101, v10, v15
	v_add_f32_e32 v102, v6, v11
	v_dual_add_f32 v106, v9, v18 :: v_dual_mul_f32 v9, 0xbf4c4adb, v185
	v_add_f32_e32 v184, v103, v110
	v_add_f32_e32 v4, v100, v4
	v_mul_f32_e32 v100, 0x3f6eb680, v188
	v_mul_f32_e32 v10, 0x3ee437d1, v188
	s_delay_alu instid0(VALU_DEP_2) | instskip(NEXT) | instid1(VALU_DEP_1)
	v_fmamk_f32 v6, v2, 0xbeb8f4ab, v100
	v_dual_fmac_f32 v100, 0x3eb8f4ab, v2 :: v_dual_add_f32 v103, v6, v16
	v_mul_f32_e32 v6, 0x3f2c7751, v185
	s_delay_alu instid0(VALU_DEP_2) | instskip(SKIP_2) | instid1(VALU_DEP_4)
	v_dual_add_f32 v99, v100, v13 :: v_dual_add_f32 v100, v3, v12
	v_fmamk_f32 v3, v2, 0xbf2c7751, v8
	v_fmac_f32_e32 v8, 0x3f2c7751, v2
	v_fmamk_f32 v5, v189, 0x3f3d2fb0, v6
	s_delay_alu instid0(VALU_DEP_3) | instskip(SKIP_1) | instid1(VALU_DEP_3)
	v_add_f32_e32 v111, v3, v24
	v_fmamk_f32 v3, v189, 0xbf1a4643, v9
	v_add_f32_e32 v110, v5, v22
	v_fma_f32 v5, 0x3f3d2fb0, v189, -v6
	v_mul_f32_e32 v6, 0xbf1a4643, v188
	v_add_f32_e32 v105, v8, v20
	v_fma_f32 v8, 0xbf1a4643, v189, -v9
	s_delay_alu instid0(VALU_DEP_4) | instskip(NEXT) | instid1(VALU_DEP_4)
	v_dual_add_f32 v104, v5, v14 :: v_dual_mul_f32 v5, 0x3f65296c, v185
	v_dual_add_f32 v112, v3, v25 :: v_dual_fmamk_f32 v3, v2, 0x3f4c4adb, v6
	v_fmac_f32_e32 v6, 0xbf4c4adb, v2
	s_delay_alu instid0(VALU_DEP_3) | instskip(SKIP_1) | instid1(VALU_DEP_4)
	v_dual_add_f32 v108, v8, v17 :: v_dual_fmamk_f32 v9, v189, 0x3ee437d1, v5
	v_fma_f32 v5, 0x3ee437d1, v189, -v5
	v_add_f32_e32 v113, v3, v21
	v_fmamk_f32 v3, v2, 0xbf65296c, v10
	v_dual_add_f32 v109, v6, v23 :: v_dual_mul_f32 v6, 0xbf763a35, v185
	v_mul_f32_e32 v8, 0xbe8c1d8e, v188
	v_fmac_f32_e32 v10, 0x3f65296c, v2
	s_delay_alu instid0(VALU_DEP_4) | instskip(NEXT) | instid1(VALU_DEP_4)
	v_dual_add_f32 v117, v3, v26 :: v_dual_add_f32 v114, v5, v27
	v_fmamk_f32 v3, v189, 0xbe8c1d8e, v6
	s_delay_alu instid0(VALU_DEP_4) | instskip(SKIP_1) | instid1(VALU_DEP_3)
	v_dual_add_f32 v116, v9, v115 :: v_dual_fmamk_f32 v5, v2, 0x3f763a35, v8
	v_fma_f32 v6, 0xbe8c1d8e, v189, -v6
	v_dual_mul_f32 v9, 0x3dbcf732, v188 :: v_dual_add_f32 v120, v3, v119
	v_mul_f32_e32 v3, 0x3f7ee86f, v185
	v_add_f32_e32 v115, v10, v118
	s_delay_alu instid0(VALU_DEP_4) | instskip(SKIP_1) | instid1(VALU_DEP_4)
	v_dual_add_f32 v121, v5, v121 :: v_dual_add_f32 v118, v6, v122
	v_fmac_f32_e32 v8, 0xbf763a35, v2
	v_fmamk_f32 v5, v189, 0x3dbcf732, v3
	v_fmamk_f32 v6, v2, 0xbf7ee86f, v9
	v_fma_f32 v3, 0x3dbcf732, v189, -v3
	v_fmac_f32_e32 v9, 0x3f7ee86f, v2
	s_delay_alu instid0(VALU_DEP_4) | instskip(NEXT) | instid1(VALU_DEP_3)
	v_dual_add_f32 v119, v8, v123 :: v_dual_add_f32 v122, v5, v184
	v_dual_add_f32 v123, v6, v190 :: v_dual_add_f32 v184, v3, v4
	s_delay_alu instid0(VALU_DEP_3)
	v_add_f32_e32 v185, v9, v7
	ds_store_2addr_b64 v0, v[68:69], v[92:93] offset1:7
	ds_store_2addr_b64 v0, v[88:89], v[90:91] offset0:14 offset1:21
	ds_store_2addr_b64 v0, v[84:85], v[86:87] offset0:28 offset1:35
	;; [unrolled: 1-line block ×7, first 2 shown]
	ds_store_b64 v0, v[60:61] offset:896
	ds_store_2addr_b64 v1, v[94:95], v[186:187] offset1:7
	ds_store_2addr_b64 v1, v[102:103], v[106:107] offset0:14 offset1:21
	ds_store_2addr_b64 v1, v[110:111], v[112:113] offset0:28 offset1:35
	;; [unrolled: 1-line block ×7, first 2 shown]
	ds_store_b64 v1, v[96:97] offset:896
	s_and_saveexec_b32 s4, vcc_lo
	s_cbranch_execz .LBB0_9
; %bb.8:
	scratch_load_b128 v[1:4], off, off offset:444 th:TH_LOAD_LU ; 16-byte Folded Reload
	v_mul_f32_e32 v0, v29, v32
	s_delay_alu instid0(VALU_DEP_1) | instskip(SKIP_1) | instid1(VALU_DEP_1)
	v_fma_f32 v63, v28, v33, -v0
	v_mul_f32_e32 v0, v31, v34
	v_fma_f32 v65, v30, v35, -v0
	s_wait_loadcnt 0x0
	v_mul_f32_e32 v0, v4, v38
	s_delay_alu instid0(VALU_DEP_1) | instskip(SKIP_1) | instid1(VALU_DEP_2)
	v_fma_f32 v60, v3, v39, -v0
	v_dual_mul_f32 v39, v4, v39 :: v_dual_mul_f32 v62, v29, v33
	v_dual_mul_f32 v0, v2, v36 :: v_dual_add_f32 v15, v60, v63
	s_delay_alu instid0(VALU_DEP_2) | instskip(NEXT) | instid1(VALU_DEP_2)
	v_dual_fmac_f32 v39, v3, v38 :: v_dual_mul_f32 v38, v2, v37
	v_fma_f32 v61, v1, v37, -v0
	s_delay_alu instid0(VALU_DEP_3) | instskip(SKIP_1) | instid1(VALU_DEP_4)
	v_dual_sub_f32 v217, v63, v60 :: v_dual_mul_f32 v82, 0xbf59a7d5, v15
	v_dual_mul_f32 v234, 0x3f3d2fb0, v15 :: v_dual_add_f32 v63, v63, v253
	v_fmac_f32_e32 v38, v1, v36
	scratch_load_b128 v[1:4], off, off offset:428 th:TH_LOAD_LU ; 16-byte Folded Reload
	v_dual_fmac_f32 v62, v28, v32 :: v_dual_mul_f32 v71, 0xbe3c28d5, v217
	v_mul_f32_e32 v92, 0xbf06c442, v217
	v_mul_f32_e32 v105, 0xbf4c4adb, v217
	v_mul_f32_e32 v218, 0xbf65296c, v217
	v_mul_f32_e32 v245, 0xbf2c7751, v217
	v_sub_f32_e32 v219, v65, v61
	v_mul_f32_e32 v115, 0xbe8c1d8e, v15
	v_mul_f32_e32 v249, 0xbeb8f4ab, v217
	;; [unrolled: 1-line block ×7, first 2 shown]
	s_wait_loadcnt 0x0
	v_dual_add_f32 v63, v65, v63 :: v_dual_mul_f32 v0, v2, v40
	v_mul_f32_e32 v21, v2, v41
	v_add_f32_e32 v37, v39, v62
	s_delay_alu instid0(VALU_DEP_3) | instskip(SKIP_3) | instid1(VALU_DEP_4)
	v_fma_f32 v66, v1, v41, -v0
	v_mul_f32_e32 v0, v4, v42
	v_mul_f32_e32 v41, v4, v43
	v_fmac_f32_e32 v21, v1, v40
	v_add_f32_e32 v63, v66, v63
	s_delay_alu instid0(VALU_DEP_4) | instskip(NEXT) | instid1(VALU_DEP_4)
	v_fma_f32 v40, v3, v43, -v0
	v_fmac_f32_e32 v41, v3, v42
	scratch_load_b128 v[1:4], off, off offset:412 th:TH_LOAD_LU ; 16-byte Folded Reload
	s_wait_loadcnt 0x0
	v_dual_mul_f32 v64, v31, v35 :: v_dual_mul_f32 v17, v2, v45
	v_mul_f32_e32 v0, v4, v46
	s_delay_alu instid0(VALU_DEP_2) | instskip(NEXT) | instid1(VALU_DEP_3)
	v_dual_fmac_f32 v64, v30, v34 :: v_dual_mul_f32 v19, v4, v47
	v_fmac_f32_e32 v17, v1, v44
	s_delay_alu instid0(VALU_DEP_3) | instskip(NEXT) | instid1(VALU_DEP_3)
	v_fma_f32 v20, v3, v47, -v0
	v_dual_mul_f32 v0, v2, v44 :: v_dual_fmac_f32 v19, v3, v46
	s_delay_alu instid0(VALU_DEP_4) | instskip(NEXT) | instid1(VALU_DEP_3)
	v_dual_add_f32 v190, v61, v65 :: v_dual_sub_f32 v25, v64, v38
	v_sub_f32_e32 v195, v66, v20
	s_delay_alu instid0(VALU_DEP_3)
	v_fma_f32 v18, v1, v45, -v0
	scratch_load_b128 v[1:4], off, off offset:396 th:TH_LOAD_LU ; 16-byte Folded Reload
	v_dual_add_f32 v194, v20, v66 :: v_dual_sub_f32 v27, v21, v19
	v_dual_sub_f32 v26, v41, v17 :: v_dual_add_f32 v199, v18, v40
	v_dual_add_f32 v31, v38, v64 :: v_dual_add_f32 v30, v19, v21
	v_mul_f32_e32 v83, 0x3ee437d1, v190
	v_dual_sub_f32 v200, v40, v18 :: v_dual_mul_f32 v69, 0xbf06c442, v195
	s_delay_alu instid0(VALU_DEP_4) | instskip(NEXT) | instid1(VALU_DEP_4)
	v_mul_f32_e32 v87, 0xbf1a4643, v199
	v_fmamk_f32 v6, v31, 0xbe8c1d8e, v106
	v_mul_f32_e32 v102, 0xbf59a7d5, v199
	v_mul_f32_e32 v84, 0xbf7ee86f, v195
	;; [unrolled: 1-line block ×12, first 2 shown]
	v_fmamk_f32 v7, v25, 0xbf06c442, v116
	v_dual_fmamk_f32 v12, v31, 0xbf1a4643, v221 :: v_dual_mul_f32 v203, 0xbf1a4643, v190
	v_mul_f32_e32 v206, 0xbf7ba420, v194
	s_delay_alu instid0(VALU_DEP_4)
	v_fmamk_f32 v9, v25, 0x3e3c28d5, v210
	v_mul_f32_e32 v208, 0xbe8c1d8e, v199
	v_mul_f32_e32 v229, 0xbf1a4643, v194
	;; [unrolled: 1-line block ×4, first 2 shown]
	v_fmamk_f32 v11, v25, 0x3f4c4adb, v203
	v_mul_f32_e32 v226, 0x3e3c28d5, v195
	v_fmac_f32_e32 v203, 0xbf4c4adb, v25
	v_fmamk_f32 v13, v25, 0x3f7ee86f, v227
	s_wait_loadcnt 0x0
	v_dual_fmac_f32 v227, 0xbf7ee86f, v25 :: v_dual_mul_f32 v0, v2, v48
	v_mul_f32_e32 v42, v2, v49
	v_mul_f32_e32 v44, v4, v51
	s_delay_alu instid0(VALU_DEP_3) | instskip(SKIP_1) | instid1(VALU_DEP_4)
	v_fma_f32 v16, v1, v49, -v0
	v_mul_f32_e32 v0, v4, v50
	v_fmac_f32_e32 v42, v1, v48
	s_delay_alu instid0(VALU_DEP_4) | instskip(NEXT) | instid1(VALU_DEP_3)
	v_fmac_f32_e32 v44, v3, v50
	v_fma_f32 v43, v3, v51, -v0
	scratch_load_b128 v[1:4], off, off offset:380 th:TH_LOAD_LU ; 16-byte Folded Reload
	s_wait_loadcnt 0x0
	v_mul_f32_e32 v0, v4, v54
	v_mul_f32_e32 v48, v2, v53
	s_delay_alu instid0(VALU_DEP_2) | instskip(SKIP_2) | instid1(VALU_DEP_4)
	v_fma_f32 v45, v3, v55, -v0
	v_mul_f32_e32 v46, v4, v55
	v_mul_f32_e32 v0, v2, v52
	v_dual_fmac_f32 v48, v1, v52 :: v_dual_mul_f32 v55, 0x3f6eb680, v190
	s_delay_alu instid0(VALU_DEP_4) | instskip(SKIP_1) | instid1(VALU_DEP_4)
	v_add_f32_e32 v205, v45, v16
	v_sub_f32_e32 v191, v16, v45
	v_fma_f32 v47, v1, v53, -v0
	s_delay_alu instid0(VALU_DEP_3)
	v_dual_mul_f32 v86, 0x3dbcf732, v194 :: v_dual_mul_f32 v99, 0x3dbcf732, v205
	v_dual_mul_f32 v53, 0xbf1a4643, v205 :: v_dual_fmac_f32 v46, v3, v54
	scratch_load_b128 v[1:4], off, off offset:364 th:TH_LOAD_LU ; 16-byte Folded Reload
	v_mul_f32_e32 v89, 0x3f6eb680, v205
	v_dual_add_f32 v209, v47, v43 :: v_dual_add_f32 v28, v17, v41
	v_mul_f32_e32 v95, 0xbeb8f4ab, v191
	v_mul_f32_e32 v113, 0xbf7ba420, v205
	;; [unrolled: 1-line block ×3, first 2 shown]
	s_delay_alu instid0(VALU_DEP_4)
	v_mul_f32_e32 v52, 0x3ee437d1, v209
	v_mul_f32_e32 v109, 0x3dbcf732, v209
	;; [unrolled: 1-line block ×9, first 2 shown]
	s_wait_loadcnt 0x0
	v_mul_f32_e32 v0, v2, v56
	v_mul_f32_e32 v68, v4, v59
	;; [unrolled: 1-line block ×3, first 2 shown]
	s_delay_alu instid0(VALU_DEP_3) | instskip(SKIP_1) | instid1(VALU_DEP_4)
	v_fma_f32 v49, v1, v57, -v0
	v_mul_f32_e32 v0, v4, v58
	v_fmac_f32_e32 v68, v3, v58
	v_mul_f32_e32 v58, 0x3f3d2fb0, v199
	v_mul_f32_e32 v199, 0x3dbcf732, v199
	s_delay_alu instid0(VALU_DEP_4) | instskip(SKIP_4) | instid1(VALU_DEP_2)
	v_fma_f32 v57, v3, v59, -v0
	scratch_load_b128 v[2:5], off, off offset:348 th:TH_LOAD_LU ; 16-byte Folded Reload
	v_mul_f32_e32 v59, 0xbf4c4adb, v191
	v_sub_f32_e32 v224, v43, v47
	v_mul_f32_e32 v108, 0xbeb8f4ab, v195
	v_mul_f32_e32 v78, 0x3f65296c, v224
	s_wait_loadcnt 0x0
	v_mul_f32_e32 v0, v5, v126
	v_dual_mul_f32 v70, v5, v127 :: v_dual_mul_f32 v73, v3, v125
	s_delay_alu instid0(VALU_DEP_2) | instskip(NEXT) | instid1(VALU_DEP_2)
	v_fma_f32 v72, v4, v127, -v0
	v_dual_fmac_f32 v70, v4, v126 :: v_dual_fmac_f32 v73, v2, v124
	v_mul_f32_e32 v74, 0x3eb8f4ab, v219
	s_delay_alu instid0(VALU_DEP_3)
	v_dual_sub_f32 v24, v42, v46 :: v_dual_sub_f32 v235, v49, v72
	v_add_f32_e32 v14, v72, v49
	v_mul_f32_e32 v80, 0xbf7ba420, v209
	v_fmamk_f32 v4, v31, 0x3ee437d1, v93
	v_mul_f32_e32 v127, 0xbe3c28d5, v191
	v_mul_f32_e32 v75, 0xbf763a35, v235
	;; [unrolled: 1-line block ×3, first 2 shown]
	v_sub_f32_e32 v23, v44, v48
	v_fmac_f32_e32 v50, v1, v56
	v_mul_f32_e32 v1, v3, v124
	v_dual_fmamk_f32 v3, v25, 0xbf65296c, v83 :: v_dual_sub_f32 v36, v62, v39
	v_mul_f32_e32 v67, 0x3f2c7751, v200
	v_mul_f32_e32 v56, 0xbf59a7d5, v194
	s_delay_alu instid0(VALU_DEP_4) | instskip(SKIP_3) | instid1(VALU_DEP_4)
	v_fma_f32 v77, v2, v125, -v1
	v_fmamk_f32 v2, v31, 0x3f6eb680, v74
	v_mul_f32_e32 v54, 0xbf7ba420, v15
	v_dual_fmamk_f32 v1, v25, 0xbeb8f4ab, v55 :: v_dual_sub_f32 v22, v50, v70
	v_add_f32_e32 v225, v77, v57
	v_sub_f32_e32 v230, v57, v77
	s_delay_alu instid0(VALU_DEP_4) | instskip(SKIP_3) | instid1(VALU_DEP_4)
	v_fmamk_f32 v0, v36, 0x3e3c28d5, v54
	v_add_f32_e32 v32, v48, v44
	v_mul_f32_e32 v126, 0x3f06c442, v219
	v_mul_f32_e32 v76, 0x3dbcf732, v225
	v_dual_mul_f32 v79, 0x3f7ee86f, v230 :: v_dual_add_f32 v0, v253, v0
	v_mul_f32_e32 v90, 0xbe8c1d8e, v225
	s_delay_alu instid0(VALU_DEP_4) | instskip(SKIP_4) | instid1(VALU_DEP_4)
	v_fmamk_f32 v8, v31, 0xbf59a7d5, v126
	v_mul_f32_e32 v100, 0xbe8c1d8e, v190
	v_mul_f32_e32 v94, 0x3f4c4adb, v200
	v_dual_add_f32 v0, v1, v0 :: v_dual_fmamk_f32 v1, v27, 0x3f06c442, v56
	v_mul_f32_e32 v88, 0x3f2c7751, v235
	v_fmamk_f32 v5, v25, 0xbf763a35, v100
	v_dual_mul_f32 v98, 0xbf1a4643, v15 :: v_dual_mul_f32 v121, 0xbf1a4643, v225
	s_delay_alu instid0(VALU_DEP_4)
	v_dual_add_f32 v0, v1, v0 :: v_dual_fmamk_f32 v1, v26, 0xbf2c7751, v58
	v_mul_f32_e32 v124, 0xbf763a35, v217
	v_mul_f32_e32 v103, 0xbe3c28d5, v235
	;; [unrolled: 1-line block ×4, first 2 shown]
	v_dual_add_f32 v0, v1, v0 :: v_dual_fmamk_f32 v1, v24, 0x3f4c4adb, v53
	v_dual_add_f32 v29, v46, v42 :: v_dual_mul_f32 v222, 0xbe3c28d5, v219
	v_mul_f32_e32 v185, 0xbf65296c, v200
	v_dual_mul_f32 v220, 0xbf7ee86f, v217 :: v_dual_mul_f32 v243, 0xbf7ee86f, v235
	s_delay_alu instid0(VALU_DEP_4) | instskip(NEXT) | instid1(VALU_DEP_4)
	v_dual_add_f32 v0, v1, v0 :: v_dual_fmamk_f32 v1, v23, 0xbf65296c, v52
	v_fmamk_f32 v10, v31, 0xbf7ba420, v222
	v_mul_f32_e32 v223, 0x3eb8f4ab, v200
	v_mul_f32_e32 v120, 0xbeb8f4ab, v235
	s_delay_alu instid0(VALU_DEP_4) | instskip(SKIP_4) | instid1(VALU_DEP_4)
	v_dual_mul_f32 v215, 0x3f4c4adb, v235 :: v_dual_add_f32 v0, v1, v0
	v_fmamk_f32 v1, v22, 0x3f763a35, v51
	v_dual_add_f32 v33, v70, v50 :: v_dual_mul_f32 v236, 0xbf7ee86f, v219
	v_mul_f32_e32 v122, 0x3f3d2fb0, v225
	v_mul_f32_e32 v232, 0xbf59a7d5, v205
	v_add_f32_e32 v0, v1, v0
	v_dual_fmamk_f32 v1, v37, 0xbf7ba420, v71 :: v_dual_sub_f32 v34, v68, v73
	v_add_f32_e32 v35, v73, v68
	v_fmamk_f32 v125, v31, 0x3dbcf732, v236
	v_mul_f32_e32 v239, 0xbf59a7d5, v225
	s_delay_alu instid0(VALU_DEP_4) | instskip(SKIP_3) | instid1(VALU_DEP_4)
	v_add_f32_e32 v1, v252, v1
	v_fmamk_f32 v15, v36, 0x3eb8f4ab, v248
	v_fmamk_f32 v190, v25, 0x3f2c7751, v247
	v_mul_f32_e32 v238, 0x3f763a35, v200
	v_dual_add_f32 v62, v252, v62 :: v_dual_add_f32 v1, v2, v1
	s_delay_alu instid0(VALU_DEP_4) | instskip(NEXT) | instid1(VALU_DEP_2)
	v_dual_fmamk_f32 v2, v30, 0xbf59a7d5, v69 :: v_dual_add_f32 v15, v253, v15
	v_dual_fmac_f32 v55, 0x3eb8f4ab, v25 :: v_dual_add_f32 v62, v64, v62
	v_fmac_f32_e32 v51, 0xbf763a35, v22
	s_delay_alu instid0(VALU_DEP_3) | instskip(NEXT) | instid1(VALU_DEP_4)
	v_dual_add_f32 v1, v2, v1 :: v_dual_fmamk_f32 v2, v28, 0x3f3d2fb0, v67
	v_add_f32_e32 v15, v190, v15
	s_delay_alu instid0(VALU_DEP_4) | instskip(SKIP_1) | instid1(VALU_DEP_4)
	v_add_f32_e32 v21, v21, v62
	v_fmac_f32_e32 v83, 0x3f65296c, v25
	v_dual_fmac_f32 v54, 0xbe3c28d5, v36 :: v_dual_add_f32 v1, v2, v1
	v_fmamk_f32 v2, v29, 0xbf1a4643, v59
	s_delay_alu instid0(VALU_DEP_4)
	v_add_f32_e32 v21, v41, v21
	v_fmac_f32_e32 v53, 0xbf4c4adb, v24
	v_fmac_f32_e32 v56, 0xbf06c442, v27
	;; [unrolled: 1-line block ×3, first 2 shown]
	v_dual_add_f32 v1, v2, v1 :: v_dual_fmamk_f32 v2, v32, 0x3ee437d1, v78
	v_dual_add_f32 v21, v42, v21 :: v_dual_fmac_f32 v248, 0xbeb8f4ab, v36
	s_delay_alu instid0(VALU_DEP_2) | instskip(NEXT) | instid1(VALU_DEP_2)
	v_dual_add_f32 v1, v2, v1 :: v_dual_fmamk_f32 v2, v33, 0xbe8c1d8e, v75
	v_add_f32_e32 v21, v44, v21
	s_delay_alu instid0(VALU_DEP_2) | instskip(SKIP_4) | instid1(VALU_DEP_4)
	v_add_f32_e32 v2, v2, v1
	v_fmamk_f32 v1, v34, 0xbf7ee86f, v76
	v_mul_f32_e32 v97, 0xbf7ba420, v14
	v_mul_f32_e32 v81, 0x3f3d2fb0, v14
	v_dual_mul_f32 v216, 0x3ee437d1, v205 :: v_dual_mul_f32 v237, 0x3ee437d1, v14
	v_dual_add_f32 v1, v1, v0 :: v_dual_fmamk_f32 v0, v35, 0x3dbcf732, v79
	v_mul_f32_e32 v110, 0x3f6eb680, v14
	v_mul_f32_e32 v198, 0x3dbcf732, v14
	;; [unrolled: 1-line block ×4, first 2 shown]
	v_add_f32_e32 v0, v0, v2
	v_dual_fmamk_f32 v2, v36, 0x3f06c442, v82 :: v_dual_add_f32 v21, v50, v21
	v_fmac_f32_e32 v52, 0x3f65296c, v23
	s_delay_alu instid0(VALU_DEP_2) | instskip(NEXT) | instid1(VALU_DEP_1)
	v_dual_add_f32 v2, v253, v2 :: v_dual_add_f32 v21, v68, v21
	v_add_f32_e32 v2, v3, v2
	v_fmamk_f32 v3, v27, 0x3f7ee86f, v86
	s_delay_alu instid0(VALU_DEP_3) | instskip(SKIP_1) | instid1(VALU_DEP_3)
	v_dual_add_f32 v21, v73, v21 :: v_dual_add_f32 v40, v40, v63
	v_fmac_f32_e32 v86, 0xbf7ee86f, v27
	v_dual_add_f32 v2, v3, v2 :: v_dual_fmamk_f32 v3, v26, 0xbf4c4adb, v87
	v_mul_f32_e32 v85, 0xbe3c28d5, v224
	v_mul_f32_e32 v114, 0xbf2c7751, v224
	;; [unrolled: 1-line block ×4, first 2 shown]
	v_dual_add_f32 v2, v3, v2 :: v_dual_fmamk_f32 v3, v24, 0x3eb8f4ab, v89
	v_dual_mul_f32 v242, 0xbeb8f4ab, v224 :: v_dual_add_f32 v21, v70, v21
	v_fmac_f32_e32 v87, 0x3f4c4adb, v26
	s_delay_alu instid0(VALU_DEP_3) | instskip(SKIP_1) | instid1(VALU_DEP_4)
	v_dual_fmac_f32 v89, 0xbeb8f4ab, v24 :: v_dual_add_f32 v2, v3, v2
	v_fmamk_f32 v3, v23, 0x3e3c28d5, v80
	v_add_f32_e32 v21, v48, v21
	v_add_f32_e32 v16, v16, v40
	v_fmac_f32_e32 v80, 0xbe3c28d5, v23
	s_delay_alu instid0(VALU_DEP_4) | instskip(NEXT) | instid1(VALU_DEP_3)
	v_dual_add_f32 v2, v3, v2 :: v_dual_fmamk_f32 v3, v37, 0xbf59a7d5, v92
	v_dual_add_f32 v21, v46, v21 :: v_dual_add_f32 v16, v43, v16
	s_delay_alu instid0(VALU_DEP_2) | instskip(NEXT) | instid1(VALU_DEP_2)
	v_add_f32_e32 v3, v252, v3
	v_add_f32_e32 v17, v17, v21
	s_delay_alu instid0(VALU_DEP_3) | instskip(SKIP_1) | instid1(VALU_DEP_4)
	v_add_f32_e32 v16, v49, v16
	v_fma_f32 v21, 0x3dbcf732, v35, -v79
	v_add_f32_e32 v3, v4, v3
	s_delay_alu instid0(VALU_DEP_4) | instskip(NEXT) | instid1(VALU_DEP_4)
	v_dual_add_f32 v17, v19, v17 :: v_dual_fmamk_f32 v4, v22, 0xbf2c7751, v81
	v_add_f32_e32 v16, v57, v16
	v_fma_f32 v19, 0xbf7ba420, v37, -v71
	v_fmac_f32_e32 v81, 0x3f2c7751, v22
	s_delay_alu instid0(VALU_DEP_4) | instskip(SKIP_1) | instid1(VALU_DEP_4)
	v_add_f32_e32 v2, v4, v2
	v_fmamk_f32 v4, v30, 0x3dbcf732, v84
	v_dual_add_f32 v16, v77, v16 :: v_dual_add_f32 v19, v252, v19
	s_delay_alu instid0(VALU_DEP_2) | instskip(SKIP_1) | instid1(VALU_DEP_3)
	v_add_f32_e32 v3, v4, v3
	v_fmamk_f32 v4, v28, 0xbf1a4643, v94
	v_add_f32_e32 v16, v72, v16
	s_delay_alu instid0(VALU_DEP_2) | instskip(SKIP_4) | instid1(VALU_DEP_4)
	v_dual_fmac_f32 v76, 0x3f7ee86f, v34 :: v_dual_add_f32 v3, v4, v3
	v_fmamk_f32 v4, v29, 0x3f6eb680, v95
	v_mul_f32_e32 v91, 0xbf763a35, v230
	v_mul_f32_e32 v107, 0x3f65296c, v230
	;; [unrolled: 1-line block ×3, first 2 shown]
	v_dual_mul_f32 v184, 0x3f2c7751, v230 :: v_dual_add_f32 v3, v4, v3
	v_fmamk_f32 v4, v32, 0xbf7ba420, v85
	v_mul_f32_e32 v244, 0xbf06c442, v230
	v_dual_add_f32 v16, v47, v16 :: v_dual_mul_f32 v241, 0x3eb8f4ab, v230
	v_fma_f32 v41, 0x3ee437d1, v35, -v107
	s_delay_alu instid0(VALU_DEP_4) | instskip(NEXT) | instid1(VALU_DEP_3)
	v_dual_add_f32 v3, v4, v3 :: v_dual_fmamk_f32 v4, v33, 0x3f3d2fb0, v88
	v_add_f32_e32 v16, v45, v16
	v_fma_f32 v43, 0xbf1a4643, v35, -v123
	s_delay_alu instid0(VALU_DEP_3) | instskip(NEXT) | instid1(VALU_DEP_3)
	v_dual_add_f32 v4, v4, v3 :: v_dual_fmamk_f32 v3, v34, 0x3f763a35, v90
	v_add_f32_e32 v16, v18, v16
	v_add_f32_e32 v18, v38, v17
	v_fma_f32 v38, 0x3ee437d1, v31, -v93
	s_delay_alu instid0(VALU_DEP_4) | instskip(SKIP_4) | instid1(VALU_DEP_4)
	v_add_f32_e32 v3, v3, v2
	v_fmamk_f32 v2, v35, 0xbe8c1d8e, v91
	v_add_f32_e32 v16, v20, v16
	v_fma_f32 v20, 0x3f6eb680, v31, -v74
	v_fmac_f32_e32 v82, 0xbf06c442, v36
	v_add_f32_e32 v2, v2, v4
	v_fmamk_f32 v4, v36, 0x3f4c4adb, v98
	s_delay_alu instid0(VALU_DEP_4) | instskip(SKIP_2) | instid1(VALU_DEP_4)
	v_dual_add_f32 v16, v61, v16 :: v_dual_add_f32 v19, v20, v19
	v_fma_f32 v20, 0xbf59a7d5, v30, -v69
	v_fmac_f32_e32 v98, 0xbf4c4adb, v36
	v_add_f32_e32 v4, v253, v4
	s_delay_alu instid0(VALU_DEP_4) | instskip(NEXT) | instid1(VALU_DEP_4)
	v_dual_add_f32 v17, v60, v16 :: v_dual_add_f32 v16, v39, v18
	v_dual_add_f32 v18, v253, v54 :: v_dual_add_f32 v19, v20, v19
	s_delay_alu instid0(VALU_DEP_3) | instskip(SKIP_1) | instid1(VALU_DEP_3)
	v_dual_add_f32 v4, v5, v4 :: v_dual_fmamk_f32 v5, v27, 0x3eb8f4ab, v101
	v_fma_f32 v20, 0x3f3d2fb0, v28, -v67
	v_add_f32_e32 v18, v55, v18
	v_fma_f32 v39, 0xbe8c1d8e, v35, -v91
	s_delay_alu instid0(VALU_DEP_4) | instskip(NEXT) | instid1(VALU_DEP_3)
	v_dual_add_f32 v4, v5, v4 :: v_dual_fmamk_f32 v5, v26, 0x3f06c442, v102
	v_add_f32_e32 v18, v56, v18
	v_add_f32_e32 v19, v20, v19
	v_fma_f32 v20, 0xbf1a4643, v29, -v59
	s_delay_alu instid0(VALU_DEP_4) | instskip(SKIP_2) | instid1(VALU_DEP_4)
	v_dual_fmac_f32 v101, 0xbeb8f4ab, v27 :: v_dual_add_f32 v4, v5, v4
	v_fmamk_f32 v5, v24, 0xbf7ee86f, v99
	v_fmac_f32_e32 v99, 0x3f7ee86f, v24
	v_add_f32_e32 v19, v20, v19
	v_fma_f32 v20, 0x3ee437d1, v32, -v78
	s_delay_alu instid0(VALU_DEP_4) | instskip(NEXT) | instid1(VALU_DEP_2)
	v_dual_add_f32 v4, v5, v4 :: v_dual_fmamk_f32 v5, v23, 0x3f2c7751, v96
	v_add_f32_e32 v19, v20, v19
	v_fma_f32 v20, 0xbe8c1d8e, v33, -v75
	s_delay_alu instid0(VALU_DEP_3) | instskip(NEXT) | instid1(VALU_DEP_2)
	v_add_f32_e32 v4, v5, v4
	v_dual_fmamk_f32 v5, v37, 0xbf1a4643, v105 :: v_dual_add_f32 v20, v20, v19
	s_delay_alu instid0(VALU_DEP_1) | instskip(NEXT) | instid1(VALU_DEP_1)
	v_add_f32_e32 v5, v252, v5
	v_add_f32_e32 v5, v6, v5
	v_fmamk_f32 v6, v22, 0x3e3c28d5, v97
	s_delay_alu instid0(VALU_DEP_1) | instskip(SKIP_1) | instid1(VALU_DEP_1)
	v_dual_fmac_f32 v97, 0xbe3c28d5, v22 :: v_dual_add_f32 v4, v6, v4
	v_fmamk_f32 v6, v30, 0x3f6eb680, v108
	v_dual_add_f32 v5, v6, v5 :: v_dual_fmamk_f32 v6, v28, 0xbf59a7d5, v112
	s_delay_alu instid0(VALU_DEP_1) | instskip(NEXT) | instid1(VALU_DEP_1)
	v_dual_add_f32 v5, v6, v5 :: v_dual_fmamk_f32 v6, v29, 0x3dbcf732, v111
	v_dual_add_f32 v5, v6, v5 :: v_dual_fmamk_f32 v6, v32, 0x3f3d2fb0, v114
	s_delay_alu instid0(VALU_DEP_1) | instskip(NEXT) | instid1(VALU_DEP_1)
	v_dual_add_f32 v5, v6, v5 :: v_dual_fmamk_f32 v6, v33, 0xbf7ba420, v103
	v_add_f32_e32 v6, v6, v5
	v_fmamk_f32 v5, v34, 0xbf65296c, v104
	s_delay_alu instid0(VALU_DEP_1) | instskip(NEXT) | instid1(VALU_DEP_1)
	v_dual_add_f32 v5, v5, v4 :: v_dual_fmamk_f32 v4, v35, 0x3ee437d1, v107
	v_add_f32_e32 v4, v4, v6
	v_fmamk_f32 v6, v36, 0x3f763a35, v115
	s_delay_alu instid0(VALU_DEP_1) | instskip(NEXT) | instid1(VALU_DEP_1)
	v_dual_fmac_f32 v115, 0xbf763a35, v36 :: v_dual_add_f32 v6, v253, v6
	v_add_f32_e32 v6, v7, v6
	v_fmamk_f32 v7, v27, 0xbf2c7751, v117
	s_delay_alu instid0(VALU_DEP_1) | instskip(SKIP_1) | instid1(VALU_DEP_1)
	v_dual_fmac_f32 v117, 0x3f2c7751, v27 :: v_dual_add_f32 v6, v7, v6
	v_fmamk_f32 v7, v26, 0x3f65296c, v118
	v_dual_add_f32 v6, v7, v6 :: v_dual_fmamk_f32 v7, v24, 0x3e3c28d5, v113
	s_delay_alu instid0(VALU_DEP_1) | instskip(SKIP_1) | instid1(VALU_DEP_1)
	v_dual_fmac_f32 v113, 0xbe3c28d5, v24 :: v_dual_add_f32 v6, v7, v6
	v_fmamk_f32 v7, v23, 0xbf7ee86f, v109
	v_dual_fmac_f32 v109, 0x3f7ee86f, v23 :: v_dual_add_f32 v6, v7, v6
	v_fmamk_f32 v7, v37, 0xbe8c1d8e, v124
	s_delay_alu instid0(VALU_DEP_1) | instskip(NEXT) | instid1(VALU_DEP_1)
	v_add_f32_e32 v7, v252, v7
	v_dual_add_f32 v7, v8, v7 :: v_dual_fmamk_f32 v8, v22, 0x3eb8f4ab, v110
	v_fmac_f32_e32 v100, 0x3f763a35, v25
	s_delay_alu instid0(VALU_DEP_2) | instskip(SKIP_1) | instid1(VALU_DEP_1)
	v_add_f32_e32 v6, v8, v6
	v_fmamk_f32 v8, v30, 0x3f3d2fb0, v119
	v_add_f32_e32 v7, v8, v7
	v_fmamk_f32 v8, v28, 0x3ee437d1, v185
	s_delay_alu instid0(VALU_DEP_1) | instskip(NEXT) | instid1(VALU_DEP_1)
	v_dual_add_f32 v7, v8, v7 :: v_dual_fmamk_f32 v8, v29, 0xbf7ba420, v127
	v_add_f32_e32 v7, v8, v7
	v_fmamk_f32 v8, v32, 0x3dbcf732, v186
	s_delay_alu instid0(VALU_DEP_1) | instskip(NEXT) | instid1(VALU_DEP_1)
	v_dual_add_f32 v7, v8, v7 :: v_dual_fmamk_f32 v8, v33, 0x3f6eb680, v120
	v_dual_add_f32 v8, v8, v7 :: v_dual_fmamk_f32 v7, v34, 0x3f4c4adb, v121
	v_fmac_f32_e32 v121, 0xbf4c4adb, v34
	s_delay_alu instid0(VALU_DEP_2) | instskip(SKIP_2) | instid1(VALU_DEP_2)
	v_add_f32_e32 v7, v7, v6
	v_fmamk_f32 v6, v35, 0xbf1a4643, v123
	v_fmac_f32_e32 v102, 0xbf06c442, v26
	v_add_f32_e32 v6, v6, v8
	v_fmamk_f32 v8, v36, 0x3f7ee86f, v207
	v_fmac_f32_e32 v207, 0xbf7ee86f, v36
	s_delay_alu instid0(VALU_DEP_2) | instskip(NEXT) | instid1(VALU_DEP_1)
	v_add_f32_e32 v8, v253, v8
	v_dual_add_f32 v8, v9, v8 :: v_dual_fmamk_f32 v9, v27, 0xbf763a35, v213
	s_delay_alu instid0(VALU_DEP_1) | instskip(NEXT) | instid1(VALU_DEP_1)
	v_dual_add_f32 v8, v9, v8 :: v_dual_fmamk_f32 v9, v26, 0xbeb8f4ab, v214
	v_dual_fmac_f32 v213, 0x3f763a35, v27 :: v_dual_add_f32 v8, v9, v8
	v_fmamk_f32 v9, v24, 0x3f65296c, v216
	v_fmac_f32_e32 v216, 0xbf65296c, v24
	s_delay_alu instid0(VALU_DEP_2) | instskip(SKIP_2) | instid1(VALU_DEP_3)
	v_dual_add_f32 v8, v9, v8 :: v_dual_fmamk_f32 v9, v23, 0x3f06c442, v187
	v_fmac_f32_e32 v187, 0xbf06c442, v23
	v_fma_f32 v42, 0xbf59a7d5, v31, -v126
	v_add_f32_e32 v8, v9, v8
	v_fmamk_f32 v9, v37, 0x3dbcf732, v220
	s_delay_alu instid0(VALU_DEP_1) | instskip(SKIP_1) | instid1(VALU_DEP_2)
	v_add_f32_e32 v9, v252, v9
	v_fma_f32 v40, 0xbe8c1d8e, v31, -v106
	v_dual_fmac_f32 v58, 0x3f2c7751, v26 :: v_dual_add_f32 v9, v10, v9
	v_fmamk_f32 v10, v22, 0xbf4c4adb, v188
	s_delay_alu instid0(VALU_DEP_2) | instskip(NEXT) | instid1(VALU_DEP_2)
	v_add_f32_e32 v18, v58, v18
	v_add_f32_e32 v8, v10, v8
	v_fmamk_f32 v10, v30, 0xbe8c1d8e, v211
	s_delay_alu instid0(VALU_DEP_1) | instskip(SKIP_1) | instid1(VALU_DEP_1)
	v_dual_add_f32 v18, v53, v18 :: v_dual_add_f32 v9, v10, v9
	v_fmamk_f32 v10, v28, 0x3f6eb680, v223
	v_dual_add_f32 v18, v52, v18 :: v_dual_add_f32 v9, v10, v9
	v_fmamk_f32 v10, v29, 0x3ee437d1, v228
	s_delay_alu instid0(VALU_DEP_1) | instskip(SKIP_1) | instid1(VALU_DEP_2)
	v_dual_add_f32 v18, v51, v18 :: v_dual_add_f32 v9, v10, v9
	v_fmamk_f32 v10, v32, 0xbf59a7d5, v212
	v_dual_add_f32 v19, v76, v18 :: v_dual_add_f32 v18, v21, v20
	v_add_f32_e32 v20, v253, v82
	v_fma_f32 v21, 0xbf59a7d5, v37, -v92
	s_delay_alu instid0(VALU_DEP_4) | instskip(NEXT) | instid1(VALU_DEP_2)
	v_dual_add_f32 v9, v10, v9 :: v_dual_fmamk_f32 v10, v33, 0xbf1a4643, v215
	v_dual_add_f32 v20, v83, v20 :: v_dual_add_f32 v21, v252, v21
	s_delay_alu instid0(VALU_DEP_2) | instskip(SKIP_1) | instid1(VALU_DEP_3)
	v_add_f32_e32 v10, v10, v9
	v_fmamk_f32 v9, v34, 0xbf2c7751, v122
	v_add_f32_e32 v20, v86, v20
	s_delay_alu instid0(VALU_DEP_4) | instskip(SKIP_1) | instid1(VALU_DEP_4)
	v_add_f32_e32 v21, v38, v21
	v_fma_f32 v38, 0x3dbcf732, v30, -v84
	v_dual_add_f32 v9, v9, v8 :: v_dual_fmamk_f32 v8, v35, 0x3f3d2fb0, v184
	s_delay_alu instid0(VALU_DEP_2) | instskip(SKIP_2) | instid1(VALU_DEP_4)
	v_dual_add_f32 v20, v87, v20 :: v_dual_add_f32 v21, v38, v21
	v_fma_f32 v38, 0xbf1a4643, v28, -v94
	v_fmac_f32_e32 v104, 0x3f65296c, v34
	v_add_f32_e32 v8, v8, v10
	v_fmamk_f32 v10, v36, 0x3f65296c, v201
	s_delay_alu instid0(VALU_DEP_4) | instskip(SKIP_1) | instid1(VALU_DEP_3)
	v_dual_add_f32 v20, v89, v20 :: v_dual_add_f32 v21, v38, v21
	v_fma_f32 v38, 0x3f6eb680, v29, -v95
	v_dual_fmac_f32 v201, 0xbf65296c, v36 :: v_dual_add_f32 v10, v253, v10
	s_delay_alu instid0(VALU_DEP_2) | instskip(SKIP_1) | instid1(VALU_DEP_3)
	v_dual_add_f32 v20, v80, v20 :: v_dual_add_f32 v21, v38, v21
	v_fma_f32 v38, 0xbf7ba420, v32, -v85
	v_add_f32_e32 v10, v11, v10
	s_delay_alu instid0(VALU_DEP_3) | instskip(NEXT) | instid1(VALU_DEP_3)
	v_dual_fmamk_f32 v11, v27, 0xbe3c28d5, v206 :: v_dual_add_f32 v20, v81, v20
	v_dual_fmac_f32 v206, 0x3e3c28d5, v27 :: v_dual_add_f32 v21, v38, v21
	v_fma_f32 v38, 0x3f3d2fb0, v33, -v88
	s_delay_alu instid0(VALU_DEP_3) | instskip(NEXT) | instid1(VALU_DEP_2)
	v_dual_add_f32 v10, v11, v10 :: v_dual_fmamk_f32 v11, v26, 0xbf763a35, v208
	v_add_f32_e32 v38, v38, v21
	s_delay_alu instid0(VALU_DEP_2) | instskip(NEXT) | instid1(VALU_DEP_1)
	v_dual_add_f32 v10, v11, v10 :: v_dual_fmamk_f32 v11, v24, 0xbf2c7751, v196
	v_add_f32_e32 v10, v11, v10
	v_fmamk_f32 v11, v23, 0x3eb8f4ab, v193
	s_delay_alu instid0(VALU_DEP_1) | instskip(SKIP_1) | instid1(VALU_DEP_1)
	v_dual_fmac_f32 v193, 0xbeb8f4ab, v23 :: v_dual_add_f32 v10, v11, v10
	v_fmamk_f32 v11, v37, 0x3ee437d1, v218
	v_dual_fmac_f32 v118, 0xbf65296c, v26 :: v_dual_add_f32 v11, v252, v11
	s_delay_alu instid0(VALU_DEP_1) | instskip(SKIP_1) | instid1(VALU_DEP_2)
	v_dual_add_f32 v11, v12, v11 :: v_dual_fmamk_f32 v12, v22, 0x3f7ee86f, v198
	v_fmac_f32_e32 v198, 0xbf7ee86f, v22
	v_add_f32_e32 v10, v12, v10
	v_fmamk_f32 v12, v30, 0xbf7ba420, v226
	v_fma_f32 v46, 0xbf1a4643, v31, -v221
	s_delay_alu instid0(VALU_DEP_2) | instskip(SKIP_1) | instid1(VALU_DEP_1)
	v_add_f32_e32 v11, v12, v11
	v_fmamk_f32 v12, v28, 0xbe8c1d8e, v238
	v_dual_add_f32 v11, v12, v11 :: v_dual_fmamk_f32 v12, v29, 0x3f3d2fb0, v240
	s_delay_alu instid0(VALU_DEP_1) | instskip(SKIP_1) | instid1(VALU_DEP_1)
	v_add_f32_e32 v11, v12, v11
	v_fmamk_f32 v12, v32, 0x3f6eb680, v242
	v_dual_add_f32 v11, v12, v11 :: v_dual_fmamk_f32 v12, v33, 0x3dbcf732, v243
	v_fmac_f32_e32 v210, 0xbe3c28d5, v25
	s_delay_alu instid0(VALU_DEP_2) | instskip(SKIP_1) | instid1(VALU_DEP_2)
	v_dual_add_f32 v12, v12, v11 :: v_dual_fmamk_f32 v11, v34, 0x3f06c442, v239
	v_fmac_f32_e32 v239, 0xbf06c442, v34
	v_dual_fmac_f32 v116, 0x3f06c442, v25 :: v_dual_add_f32 v11, v11, v10
	v_fmamk_f32 v10, v35, 0xbf59a7d5, v244
	s_delay_alu instid0(VALU_DEP_1) | instskip(SKIP_2) | instid1(VALU_DEP_2)
	v_add_f32_e32 v10, v10, v12
	v_fmamk_f32 v12, v36, 0x3f2c7751, v234
	v_fmac_f32_e32 v234, 0xbf2c7751, v36
	v_add_f32_e32 v12, v253, v12
	s_delay_alu instid0(VALU_DEP_1) | instskip(NEXT) | instid1(VALU_DEP_1)
	v_dual_add_f32 v12, v13, v12 :: v_dual_fmamk_f32 v13, v27, 0x3f4c4adb, v229
	v_dual_fmac_f32 v229, 0xbf4c4adb, v27 :: v_dual_add_f32 v12, v13, v12
	v_fmamk_f32 v13, v26, 0x3e3c28d5, v231
	s_delay_alu instid0(VALU_DEP_1) | instskip(SKIP_1) | instid1(VALU_DEP_1)
	v_dual_fmac_f32 v231, 0xbe3c28d5, v26 :: v_dual_add_f32 v12, v13, v12
	v_fmamk_f32 v13, v24, 0xbf06c442, v232
	v_dual_add_f32 v12, v13, v12 :: v_dual_fmamk_f32 v13, v23, 0xbf763a35, v233
	s_delay_alu instid0(VALU_DEP_1) | instskip(SKIP_2) | instid1(VALU_DEP_2)
	v_dual_fmac_f32 v233, 0x3f763a35, v23 :: v_dual_add_f32 v12, v13, v12
	v_fmamk_f32 v13, v37, 0x3f3d2fb0, v245
	v_fmac_f32_e32 v122, 0x3f2c7751, v34
	v_dual_fmac_f32 v96, 0xbf2c7751, v23 :: v_dual_add_f32 v13, v252, v13
	s_delay_alu instid0(VALU_DEP_1) | instskip(SKIP_1) | instid1(VALU_DEP_1)
	v_add_f32_e32 v13, v125, v13
	v_fmamk_f32 v125, v22, 0xbf65296c, v237
	v_dual_fmac_f32 v237, 0x3f65296c, v22 :: v_dual_add_f32 v12, v125, v12
	v_mul_f32_e32 v125, 0xbf4c4adb, v195
	v_fma_f32 v36, 0x3f3d2fb0, v37, -v245
	s_delay_alu instid0(VALU_DEP_1) | instskip(NEXT) | instid1(VALU_DEP_1)
	v_dual_fmamk_f32 v189, v30, 0xbf1a4643, v125 :: v_dual_add_f32 v36, v252, v36
	v_dual_fmac_f32 v188, 0x3f4c4adb, v22 :: v_dual_add_f32 v13, v189, v13
	v_mul_f32_e32 v189, 0xbe3c28d5, v200
	v_fma_f32 v44, 0xbf7ba420, v31, -v222
	v_fmac_f32_e32 v90, 0xbf763a35, v34
	v_fmac_f32_e32 v214, 0x3eb8f4ab, v26
	s_delay_alu instid0(VALU_DEP_2) | instskip(SKIP_2) | instid1(VALU_DEP_3)
	v_dual_fmamk_f32 v192, v28, 0xbf7ba420, v189 :: v_dual_add_f32 v21, v90, v20
	v_add_f32_e32 v20, v39, v38
	v_fma_f32 v39, 0xbf1a4643, v37, -v105
	v_dual_add_f32 v13, v192, v13 :: v_dual_mul_f32 v192, 0x3f06c442, v191
	s_delay_alu instid0(VALU_DEP_2) | instskip(NEXT) | instid1(VALU_DEP_1)
	v_dual_add_f32 v38, v253, v98 :: v_dual_add_f32 v39, v252, v39
	v_dual_fmamk_f32 v197, v29, 0xbf59a7d5, v192 :: v_dual_add_f32 v38, v100, v38
	s_delay_alu instid0(VALU_DEP_2) | instskip(SKIP_1) | instid1(VALU_DEP_3)
	v_add_f32_e32 v39, v40, v39
	v_fma_f32 v40, 0x3f6eb680, v30, -v108
	v_add_f32_e32 v13, v197, v13
	s_delay_alu instid0(VALU_DEP_4) | instskip(NEXT) | instid1(VALU_DEP_3)
	v_dual_mul_f32 v197, 0x3f763a35, v224 :: v_dual_add_f32 v38, v101, v38
	v_add_f32_e32 v39, v40, v39
	v_fma_f32 v40, 0xbf59a7d5, v28, -v112
	s_delay_alu instid0(VALU_DEP_3) | instskip(NEXT) | instid1(VALU_DEP_2)
	v_fmamk_f32 v202, v32, 0xbe8c1d8e, v197
	v_dual_add_f32 v38, v102, v38 :: v_dual_add_f32 v39, v40, v39
	s_delay_alu instid0(VALU_DEP_2) | instskip(SKIP_1) | instid1(VALU_DEP_3)
	v_dual_add_f32 v13, v202, v13 :: v_dual_mul_f32 v202, 0x3f65296c, v235
	v_fma_f32 v40, 0x3dbcf732, v29, -v111
	v_add_f32_e32 v38, v99, v38
	s_delay_alu instid0(VALU_DEP_2) | instskip(SKIP_1) | instid1(VALU_DEP_3)
	v_dual_fmamk_f32 v204, v33, 0x3ee437d1, v202 :: v_dual_add_f32 v39, v40, v39
	v_fma_f32 v40, 0x3f3d2fb0, v32, -v114
	v_add_f32_e32 v38, v96, v38
	s_delay_alu instid0(VALU_DEP_3) | instskip(NEXT) | instid1(VALU_DEP_3)
	v_add_f32_e32 v246, v204, v13
	v_dual_mul_f32 v204, 0x3f6eb680, v225 :: v_dual_add_f32 v39, v40, v39
	v_fma_f32 v40, 0xbf7ba420, v33, -v103
	s_delay_alu instid0(VALU_DEP_2) | instskip(SKIP_1) | instid1(VALU_DEP_3)
	v_dual_add_f32 v38, v97, v38 :: v_dual_fmamk_f32 v13, v34, 0xbeb8f4ab, v204
	v_fmac_f32_e32 v204, 0x3eb8f4ab, v34
	v_add_f32_e32 v40, v40, v39
	s_delay_alu instid0(VALU_DEP_3) | instskip(NEXT) | instid1(VALU_DEP_4)
	v_add_f32_e32 v39, v104, v38
	v_dual_add_f32 v13, v13, v12 :: v_dual_fmamk_f32 v12, v35, 0x3f6eb680, v241
	s_delay_alu instid0(VALU_DEP_3)
	v_add_f32_e32 v38, v41, v40
	v_fma_f32 v41, 0xbe8c1d8e, v37, -v124
	v_add_f32_e32 v40, v253, v115
	v_fma_f32 v45, 0x3f3d2fb0, v35, -v184
	v_add_f32_e32 v12, v12, v246
	v_mul_f32_e32 v246, 0x3ee437d1, v194
	v_mul_f32_e32 v194, 0xbe8c1d8e, v205
	v_add_f32_e32 v41, v252, v41
	v_add_f32_e32 v40, v116, v40
	s_delay_alu instid0(VALU_DEP_4) | instskip(NEXT) | instid1(VALU_DEP_3)
	v_fmamk_f32 v190, v27, 0x3f65296c, v246
	v_dual_fmac_f32 v246, 0xbf65296c, v27 :: v_dual_add_f32 v41, v42, v41
	v_fma_f32 v42, 0x3f3d2fb0, v30, -v119
	s_delay_alu instid0(VALU_DEP_3) | instskip(SKIP_1) | instid1(VALU_DEP_3)
	v_dual_add_f32 v40, v117, v40 :: v_dual_add_f32 v15, v190, v15
	v_fmamk_f32 v190, v26, 0x3f7ee86f, v199
	v_dual_fmac_f32 v196, 0x3f2c7751, v24 :: v_dual_add_f32 v41, v42, v41
	v_fma_f32 v42, 0x3ee437d1, v28, -v185
	s_delay_alu instid0(VALU_DEP_4) | instskip(NEXT) | instid1(VALU_DEP_4)
	v_add_f32_e32 v40, v118, v40
	v_dual_add_f32 v15, v190, v15 :: v_dual_fmamk_f32 v190, v24, 0x3f763a35, v194
	s_delay_alu instid0(VALU_DEP_3) | instskip(SKIP_1) | instid1(VALU_DEP_3)
	v_dual_fmac_f32 v194, 0xbf763a35, v24 :: v_dual_add_f32 v41, v42, v41
	v_fma_f32 v42, 0xbf7ba420, v29, -v127
	v_dual_add_f32 v40, v113, v40 :: v_dual_add_f32 v15, v190, v15
	v_mul_f32_e32 v190, 0xbf1a4643, v209
	v_mul_f32_e32 v209, 0xbf2c7751, v219
	s_delay_alu instid0(VALU_DEP_4) | instskip(SKIP_1) | instid1(VALU_DEP_4)
	v_add_f32_e32 v41, v42, v41
	v_fma_f32 v42, 0x3dbcf732, v32, -v186
	v_dual_add_f32 v40, v109, v40 :: v_dual_fmamk_f32 v205, v23, 0x3f4c4adb, v190
	s_delay_alu instid0(VALU_DEP_4) | instskip(SKIP_1) | instid1(VALU_DEP_4)
	v_fmamk_f32 v217, v31, 0x3f3d2fb0, v209
	v_fma_f32 v25, 0x3f3d2fb0, v31, -v209
	v_add_f32_e32 v41, v42, v41
	v_fma_f32 v42, 0x3f6eb680, v33, -v120
	v_add_f32_e32 v15, v205, v15
	v_fmamk_f32 v205, v37, 0x3f6eb680, v249
	v_fmac_f32_e32 v190, 0xbf4c4adb, v23
	s_delay_alu instid0(VALU_DEP_4) | instskip(NEXT) | instid1(VALU_DEP_3)
	v_dual_fmac_f32 v199, 0xbf7ee86f, v26 :: v_dual_add_f32 v42, v42, v41
	v_dual_add_f32 v205, v252, v205 :: v_dual_fmac_f32 v208, 0x3f763a35, v26
	s_delay_alu instid0(VALU_DEP_1)
	v_add_f32_e32 v219, v217, v205
	v_mul_f32_e32 v205, 0xbf59a7d5, v14
	v_mul_f32_e32 v217, 0xbf65296c, v195
	;; [unrolled: 1-line block ×3, first 2 shown]
	v_fma_f32 v48, 0x3dbcf732, v31, -v236
	v_fma_f32 v31, 0xbf1a4643, v30, -v125
	v_fmamk_f32 v14, v22, 0x3f06c442, v205
	v_fma_f32 v27, 0x3ee437d1, v30, -v217
	v_fmamk_f32 v200, v28, 0x3dbcf732, v195
	v_add_f32_e32 v36, v48, v36
	v_fmac_f32_e32 v110, 0xbeb8f4ab, v22
	v_add_f32_e32 v14, v14, v15
	v_fmamk_f32 v15, v30, 0x3ee437d1, v217
	v_fma_f32 v26, 0x3dbcf732, v28, -v195
	v_add_f32_e32 v31, v31, v36
	v_dual_add_f32 v40, v110, v40 :: v_dual_fmac_f32 v205, 0xbf06c442, v22
	s_delay_alu instid0(VALU_DEP_4) | instskip(SKIP_1) | instid1(VALU_DEP_3)
	v_add_f32_e32 v15, v15, v219
	v_mul_f32_e32 v219, 0xbf4c4adb, v224
	v_dual_mul_f32 v224, 0xbf06c442, v235 :: v_dual_add_f32 v41, v121, v40
	s_delay_alu instid0(VALU_DEP_3) | instskip(SKIP_3) | instid1(VALU_DEP_3)
	v_dual_add_f32 v40, v43, v42 :: v_dual_add_f32 v15, v200, v15
	v_mul_f32_e32 v200, 0xbf763a35, v191
	v_fma_f32 v43, 0x3dbcf732, v37, -v220
	v_add_f32_e32 v42, v253, v207
	v_fmamk_f32 v191, v29, 0xbe8c1d8e, v200
	s_delay_alu instid0(VALU_DEP_2) | instskip(NEXT) | instid1(VALU_DEP_2)
	v_dual_add_f32 v43, v252, v43 :: v_dual_add_f32 v42, v210, v42
	v_add_f32_e32 v15, v191, v15
	v_fmamk_f32 v191, v32, 0xbf1a4643, v219
	s_delay_alu instid0(VALU_DEP_3) | instskip(SKIP_1) | instid1(VALU_DEP_3)
	v_add_f32_e32 v43, v44, v43
	v_fma_f32 v44, 0xbe8c1d8e, v30, -v211
	v_dual_add_f32 v42, v213, v42 :: v_dual_add_f32 v15, v191, v15
	v_fmamk_f32 v191, v33, 0xbf59a7d5, v224
	s_delay_alu instid0(VALU_DEP_3) | instskip(SKIP_1) | instid1(VALU_DEP_4)
	v_add_f32_e32 v43, v44, v43
	v_fma_f32 v44, 0x3f6eb680, v28, -v223
	v_add_f32_e32 v42, v214, v42
	v_fma_f32 v47, 0xbf59a7d5, v35, -v244
	v_add_f32_e32 v235, v191, v15
	v_mul_f32_e32 v191, 0xbf7ba420, v225
	v_mul_f32_e32 v225, 0xbe3c28d5, v230
	v_add_f32_e32 v43, v44, v43
	v_fma_f32 v44, 0x3ee437d1, v29, -v228
	s_delay_alu instid0(VALU_DEP_4) | instskip(SKIP_2) | instid1(VALU_DEP_4)
	v_dual_add_f32 v42, v216, v42 :: v_dual_fmamk_f32 v15, v34, 0x3e3c28d5, v191
	v_fmac_f32_e32 v232, 0x3f06c442, v24
	v_fmac_f32_e32 v191, 0xbe3c28d5, v34
	v_add_f32_e32 v43, v44, v43
	v_fma_f32 v44, 0xbf59a7d5, v32, -v212
	v_add_f32_e32 v15, v15, v14
	v_fmamk_f32 v14, v35, 0xbf7ba420, v225
	s_delay_alu instid0(VALU_DEP_3) | instskip(SKIP_1) | instid1(VALU_DEP_3)
	v_dual_add_f32 v42, v187, v42 :: v_dual_add_f32 v43, v44, v43
	v_fma_f32 v44, 0xbf1a4643, v33, -v215
	v_add_f32_e32 v14, v14, v235
	s_delay_alu instid0(VALU_DEP_3) | instskip(NEXT) | instid1(VALU_DEP_1)
	v_add_f32_e32 v42, v188, v42
	v_dual_add_f32 v44, v44, v43 :: v_dual_add_f32 v43, v122, v42
	s_delay_alu instid0(VALU_DEP_1) | instskip(SKIP_3) | instid1(VALU_DEP_2)
	v_add_f32_e32 v42, v45, v44
	v_fma_f32 v45, 0x3ee437d1, v37, -v218
	v_add_f32_e32 v44, v253, v201
	v_fma_f32 v37, 0x3f6eb680, v37, -v249
	v_dual_add_f32 v45, v252, v45 :: v_dual_add_f32 v44, v203, v44
	s_delay_alu instid0(VALU_DEP_2) | instskip(NEXT) | instid1(VALU_DEP_2)
	v_add_f32_e32 v37, v252, v37
	v_add_f32_e32 v45, v46, v45
	v_fma_f32 v46, 0xbf7ba420, v30, -v226
	s_delay_alu instid0(VALU_DEP_3) | instskip(SKIP_1) | instid1(VALU_DEP_3)
	v_dual_add_f32 v44, v206, v44 :: v_dual_add_f32 v25, v25, v37
	v_fma_f32 v30, 0xbf7ba420, v28, -v189
	v_add_f32_e32 v45, v46, v45
	v_fma_f32 v46, 0xbe8c1d8e, v28, -v238
	s_delay_alu instid0(VALU_DEP_4) | instskip(NEXT) | instid1(VALU_DEP_4)
	v_add_f32_e32 v44, v208, v44
	v_dual_add_f32 v30, v30, v31 :: v_dual_add_f32 v25, v27, v25
	v_fma_f32 v27, 0xbf59a7d5, v29, -v192
	s_delay_alu instid0(VALU_DEP_4) | instskip(SKIP_2) | instid1(VALU_DEP_4)
	v_add_f32_e32 v45, v46, v45
	v_fma_f32 v46, 0x3f3d2fb0, v29, -v240
	v_add_f32_e32 v44, v196, v44
	v_dual_add_f32 v24, v26, v25 :: v_dual_add_f32 v27, v27, v30
	v_fma_f32 v26, 0xbe8c1d8e, v32, -v197
	v_fma_f32 v25, 0xbe8c1d8e, v29, -v200
	v_add_f32_e32 v45, v46, v45
	v_fma_f32 v46, 0x3f6eb680, v32, -v242
	v_add_f32_e32 v44, v193, v44
	s_delay_alu instid0(VALU_DEP_4) | instskip(SKIP_4) | instid1(VALU_DEP_4)
	v_dual_add_f32 v26, v26, v27 :: v_dual_add_f32 v23, v25, v24
	v_fma_f32 v25, 0x3ee437d1, v33, -v202
	v_fma_f32 v24, 0xbf1a4643, v32, -v219
	v_add_f32_e32 v45, v46, v45
	v_fma_f32 v46, 0x3dbcf732, v33, -v243
	v_dual_add_f32 v44, v198, v44 :: v_dual_add_f32 v25, v25, v26
	s_delay_alu instid0(VALU_DEP_4) | instskip(SKIP_1) | instid1(VALU_DEP_3)
	v_add_f32_e32 v22, v24, v23
	v_fma_f32 v24, 0xbf59a7d5, v33, -v224
	v_dual_add_f32 v46, v46, v45 :: v_dual_add_f32 v45, v239, v44
	s_delay_alu instid0(VALU_DEP_2) | instskip(NEXT) | instid1(VALU_DEP_2)
	v_add_f32_e32 v24, v24, v22
	v_dual_add_f32 v44, v47, v46 :: v_dual_add_f32 v47, v253, v248
	v_add_f32_e32 v46, v253, v234
	s_delay_alu instid0(VALU_DEP_2) | instskip(NEXT) | instid1(VALU_DEP_1)
	v_add_f32_e32 v36, v247, v47
	v_dual_add_f32 v46, v227, v46 :: v_dual_add_f32 v31, v246, v36
	s_delay_alu instid0(VALU_DEP_1) | instskip(NEXT) | instid1(VALU_DEP_2)
	v_add_f32_e32 v46, v229, v46
	v_add_f32_e32 v28, v199, v31
	s_delay_alu instid0(VALU_DEP_1)
	v_dual_add_f32 v46, v231, v46 :: v_dual_add_f32 v27, v194, v28
	s_clause 0x1
	scratch_load_b32 v28, off, off offset:296 th:TH_LOAD_LU
	scratch_load_b32 v29, off, off offset:320 th:TH_LOAD_LU
	v_add_f32_e32 v46, v232, v46
	v_add_f32_e32 v26, v190, v27
	v_fma_f32 v27, 0x3f6eb680, v35, -v241
	s_delay_alu instid0(VALU_DEP_3) | instskip(NEXT) | instid1(VALU_DEP_3)
	v_add_f32_e32 v46, v233, v46
	v_add_f32_e32 v26, v205, v26
	s_delay_alu instid0(VALU_DEP_3) | instskip(NEXT) | instid1(VALU_DEP_3)
	v_add_f32_e32 v22, v27, v25
	v_add_f32_e32 v46, v237, v46
	s_delay_alu instid0(VALU_DEP_3) | instskip(NEXT) | instid1(VALU_DEP_2)
	v_add_f32_e32 v25, v191, v26
	v_add_f32_e32 v23, v204, v46
	s_wait_loadcnt 0x0
	v_lshl_add_u32 v28, v29, 3, v28
	v_fma_f32 v29, 0xbf7ba420, v35, -v225
	s_delay_alu instid0(VALU_DEP_2) | instskip(SKIP_1) | instid1(VALU_DEP_3)
	v_add_nc_u32_e32 v30, 0x800, v28
	v_add_nc_u32_e32 v26, 0x1000, v28
	v_add_f32_e32 v24, v29, v24
	ds_store_2addr_b64 v30, v[16:17], v[14:15] offset0:220 offset1:227
	ds_store_2addr_b64 v30, v[12:13], v[10:11] offset0:234 offset1:241
	;; [unrolled: 1-line block ×8, first 2 shown]
	ds_store_b64 v28, v[24:25] offset:4704
.LBB0_9:
	s_wait_alu 0xfffe
	s_or_b32 exec_lo, exec_lo, s4
	global_wb scope:SCOPE_SE
	s_wait_dscnt 0x0
	s_barrier_signal -1
	s_barrier_wait -1
	global_inv scope:SCOPE_SE
	ds_load_2addr_b64 v[0:3], v255 offset0:102 offset1:119
	v_add_nc_u32_e32 v42, 0x800, v255
	s_mov_b32 s4, 0x1b89401c
	s_mov_b32 s5, 0x3f5b8940
	s_movk_i32 s6, 0xf098
	s_mov_b32 s7, -1
	s_delay_alu instid0(SALU_CYCLE_1)
	s_mul_u64 s[6:7], s[0:1], s[6:7]
	s_wait_dscnt 0x0
	v_mul_f32_e32 v57, v141, v2
	ds_load_2addr_b64 v[12:15], v255 offset1:17
	ds_load_2addr_b64 v[16:19], v255 offset0:238 offset1:255
	ds_load_2addr_b64 v[20:23], v42 offset0:84 offset1:101
	;; [unrolled: 1-line block ×3, first 2 shown]
	v_add_nc_u32_e32 v43, 0x1000, v255
	v_fma_f32 v88, v140, v3, -v57
	s_wait_dscnt 0x1
	v_dual_mul_f32 v89, v143, v17 :: v_dual_mul_f32 v90, v133, v23
	v_mul_f32_e32 v87, v141, v3
	v_dual_mul_f32 v3, v133, v22 :: v_dual_mul_f32 v94, v131, v19
	s_wait_dscnt 0x0
	s_delay_alu instid0(VALU_DEP_3) | instskip(NEXT) | instid1(VALU_DEP_3)
	v_dual_mul_f32 v91, v135, v25 :: v_dual_fmac_f32 v90, v132, v22
	v_dual_fmac_f32 v87, v140, v2 :: v_dual_add_nc_u32 v44, 0xc00, v255
	ds_load_2addr_b64 v[28:31], v255 offset0:136 offset1:153
	ds_load_2addr_b64 v[32:35], v42 offset0:118 offset1:135
	ds_load_2addr_b64 v[8:11], v255 offset0:34 offset1:51
	ds_load_2addr_b64 v[36:39], v42 offset0:16 offset1:33
	ds_load_2addr_b64 v[45:48], v44 offset0:126 offset1:143
	v_mul_f32_e32 v2, v143, v16
	ds_load_2addr_b64 v[49:52], v255 offset0:170 offset1:187
	ds_load_2addr_b64 v[53:56], v42 offset0:152 offset1:169
	;; [unrolled: 1-line block ×5, first 2 shown]
	v_fmac_f32_e32 v89, v142, v16
	ds_load_2addr_b64 v[79:82], v255 offset0:204 offset1:221
	ds_load_2addr_b64 v[83:86], v42 offset0:186 offset1:203
	ds_load_b64 v[40:41], v255 offset:4624
	v_mul_f32_e32 v16, v131, v18
	v_fma_f32 v92, v142, v17, -v2
	v_mul_f32_e32 v2, v135, v24
	v_fma_f32 v22, v132, v23, -v3
	v_fmac_f32_e32 v94, v130, v18
	v_fmac_f32_e32 v91, v134, v24
	v_fma_f32 v96, v130, v19, -v16
	v_fma_f32 v23, v134, v25, -v2
	v_mul_f32_e32 v25, v139, v27
	s_wait_dscnt 0xc
	v_dual_sub_f32 v18, v87, v89 :: v_dual_mul_f32 v3, v129, v28
	s_wait_dscnt 0xb
	s_delay_alu instid0(VALU_DEP_2)
	v_dual_mul_f32 v2, v137, v32 :: v_dual_fmac_f32 v25, v138, v26
	s_wait_dscnt 0x9
	v_mul_f32_e32 v98, v151, v37
	s_wait_dscnt 0x8
	v_dual_mul_f32 v106, v183, v48 :: v_dual_mul_f32 v93, v129, v29
	v_fma_f32 v95, v128, v29, -v3
	v_dual_mul_f32 v29, v137, v33 :: v_dual_mul_f32 v70, v175, v39
	s_delay_alu instid0(VALU_DEP_3) | instskip(SKIP_2) | instid1(VALU_DEP_4)
	v_dual_mul_f32 v3, v139, v26 :: v_dual_fmac_f32 v106, v182, v47
	v_fmac_f32_e32 v98, v150, v36
	v_fmac_f32_e32 v93, v128, v28
	v_dual_fmac_f32 v29, v136, v32 :: v_dual_mul_f32 v16, v145, v34
	v_fma_f32 v32, v136, v33, -v2
	v_mul_f32_e32 v2, v149, v30
	v_mul_f32_e32 v97, v149, v31
	v_fma_f32 v33, v138, v27, -v3
	v_dual_mul_f32 v3, v151, v36 :: v_dual_fmac_f32 v70, v174, v38
	s_delay_alu instid0(VALU_DEP_4) | instskip(SKIP_1) | instid1(VALU_DEP_3)
	v_fma_f32 v100, v148, v31, -v2
	v_dual_mul_f32 v2, v147, v45 :: v_dual_mul_f32 v99, v145, v35
	v_fma_f32 v101, v150, v37, -v3
	v_fma_f32 v102, v144, v35, -v16
	s_wait_dscnt 0x6
	v_dual_mul_f32 v35, v147, v46 :: v_dual_mul_f32 v64, v169, v56
	v_mul_f32_e32 v103, v173, v50
	s_wait_dscnt 0x3
	v_dual_mul_f32 v3, v173, v49 :: v_dual_mul_f32 v68, v171, v76
	v_fma_f32 v104, v146, v46, -v2
	v_mul_f32_e32 v2, v175, v38
	v_fmac_f32_e32 v99, v144, v34
	s_delay_alu instid0(VALU_DEP_4)
	v_fma_f32 v69, v172, v50, -v3
	v_fmac_f32_e32 v64, v168, v55
	s_wait_dscnt 0x2
	v_dual_fmac_f32 v103, v172, v49 :: v_dual_mul_f32 v58, v165, v80
	v_mul_f32_e32 v3, v181, v53
	v_fma_f32 v107, v174, v39, -v2
	v_dual_mul_f32 v2, v177, v51 :: v_dual_fmac_f32 v97, v148, v30
	v_dual_mul_f32 v16, v183, v47 :: v_dual_fmac_f32 v35, v146, v45
	;; [unrolled: 1-line block ×3, first 2 shown]
	v_mul_f32_e32 v67, v177, v52
	s_delay_alu instid0(VALU_DEP_4)
	v_fma_f32 v61, v176, v52, -v2
	v_mul_f32_e32 v2, v169, v55
	v_fmac_f32_e32 v58, v164, v79
	v_fma_f32 v108, v180, v54, -v3
	v_mul_f32_e32 v3, v179, v71
	v_fmac_f32_e32 v105, v180, v53
	v_fma_f32 v109, v182, v48, -v16
	v_mul_f32_e32 v16, v165, v79
	v_fma_f32 v65, v168, v56, -v2
	v_dual_mul_f32 v2, v167, v73 :: v_dual_fmac_f32 v67, v176, v51
	v_mul_f32_e32 v60, v163, v78
	v_dual_mul_f32 v63, v179, v72 :: v_dual_mul_f32 v48, v153, v82
	v_fma_f32 v62, v178, v72, -v3
	v_mul_f32_e32 v3, v171, v75
	v_fma_f32 v53, v164, v80, -v16
	v_mul_f32_e32 v55, v167, v74
	v_fma_f32 v54, v166, v74, -v2
	v_fmac_f32_e32 v60, v162, v77
	v_dual_fmac_f32 v63, v178, v71 :: v_dual_mul_f32 v2, v163, v77
	v_mul_f32_e32 v16, v155, v20
	v_fmac_f32_e32 v48, v152, v81
	v_fma_f32 v66, v170, v76, -v3
	s_wait_dscnt 0x1
	v_mul_f32_e32 v3, v161, v83
	s_wait_dscnt 0x0
	v_dual_mul_f32 v57, v161, v84 :: v_dual_mul_f32 v52, v159, v41
	v_fma_f32 v59, v162, v78, -v2
	v_fma_f32 v46, v154, v21, -v16
	;; [unrolled: 1-line block ×3, first 2 shown]
	s_delay_alu instid0(VALU_DEP_4) | instskip(SKIP_2) | instid1(VALU_DEP_3)
	v_dual_mul_f32 v3, v153, v81 :: v_dual_fmac_f32 v52, v158, v40
	v_add_f32_e32 v2, v89, v90
	v_dual_add_f32 v16, v12, v87 :: v_dual_fmac_f32 v55, v166, v73
	v_fma_f32 v45, v152, v82, -v3
	v_mul_f32_e32 v3, v157, v85
	s_delay_alu instid0(VALU_DEP_4)
	v_fma_f32 v2, -0.5, v2, v12
	v_sub_f32_e32 v17, v88, v23
	v_mul_f32_e32 v47, v155, v21
	v_dual_fmac_f32 v57, v160, v83 :: v_dual_mul_f32 v50, v157, v86
	v_fma_f32 v49, v156, v86, -v3
	v_dual_add_f32 v3, v16, v89 :: v_dual_mul_f32 v24, v159, v40
	s_delay_alu instid0(VALU_DEP_4) | instskip(NEXT) | instid1(VALU_DEP_4)
	v_dual_fmamk_f32 v16, v17, 0xbf737871, v2 :: v_dual_fmac_f32 v47, v154, v20
	v_fmac_f32_e32 v50, v156, v85
	v_sub_f32_e32 v20, v91, v90
	v_sub_f32_e32 v19, v92, v22
	v_dual_add_f32 v21, v87, v91 :: v_dual_fmac_f32 v2, 0x3f737871, v17
	v_fma_f32 v51, v158, v41, -v24
	s_delay_alu instid0(VALU_DEP_4) | instskip(NEXT) | instid1(VALU_DEP_4)
	v_dual_add_f32 v26, v18, v20 :: v_dual_add_f32 v3, v3, v90
	v_fmac_f32_e32 v16, 0xbf167918, v19
	s_delay_alu instid0(VALU_DEP_4) | instskip(SKIP_1) | instid1(VALU_DEP_4)
	v_fma_f32 v12, -0.5, v21, v12
	v_dual_sub_f32 v21, v90, v91 :: v_dual_add_f32 v24, v13, v88
	v_dual_add_f32 v20, v3, v91 :: v_dual_add_f32 v27, v92, v22
	s_delay_alu instid0(VALU_DEP_4) | instskip(NEXT) | instid1(VALU_DEP_4)
	v_dual_fmac_f32 v16, 0x3e9e377a, v26 :: v_dual_sub_f32 v3, v89, v87
	v_fmamk_f32 v18, v19, 0x3f737871, v12
	v_fmac_f32_e32 v2, 0x3f167918, v19
	v_fmac_f32_e32 v12, 0xbf737871, v19
	v_sub_f32_e32 v30, v23, v22
	v_add_f32_e32 v21, v3, v21
	v_fma_f32 v3, -0.5, v27, v13
	v_dual_sub_f32 v27, v87, v91 :: v_dual_fmac_f32 v18, 0xbf167918, v17
	v_add_f32_e32 v19, v24, v92
	v_dual_add_f32 v24, v88, v23 :: v_dual_sub_f32 v31, v95, v33
	v_add_f32_e32 v37, v96, v32
	s_delay_alu instid0(VALU_DEP_3)
	v_dual_sub_f32 v38, v33, v32 :: v_dual_add_f32 v19, v19, v22
	v_fmac_f32_e32 v2, 0x3e9e377a, v26
	v_sub_f32_e32 v26, v89, v90
	v_fmac_f32_e32 v12, 0x3f167918, v17
	v_fmamk_f32 v17, v27, 0x3f737871, v3
	v_fma_f32 v13, -0.5, v24, v13
	v_dual_fmac_f32 v3, 0xbf737871, v27 :: v_dual_sub_f32 v28, v88, v92
	s_delay_alu instid0(VALU_DEP_3) | instskip(SKIP_1) | instid1(VALU_DEP_3)
	v_dual_sub_f32 v22, v22, v23 :: v_dual_fmac_f32 v17, 0x3f167918, v26
	v_sub_f32_e32 v39, v35, v99
	v_fmac_f32_e32 v3, 0xbf167918, v26
	s_delay_alu instid0(VALU_DEP_4)
	v_add_f32_e32 v24, v28, v30
	v_fmac_f32_e32 v18, 0x3e9e377a, v21
	v_dual_fmac_f32 v12, 0x3e9e377a, v21 :: v_dual_add_f32 v21, v19, v23
	v_dual_fmamk_f32 v19, v26, 0xbf737871, v13 :: v_dual_sub_f32 v28, v92, v88
	v_fmac_f32_e32 v13, 0x3f737871, v26
	v_dual_add_f32 v23, v94, v29 :: v_dual_add_f32 v40, v97, v35
	s_delay_alu instid0(VALU_DEP_3) | instskip(NEXT) | instid1(VALU_DEP_3)
	v_dual_fmac_f32 v19, 0x3f167918, v27 :: v_dual_add_f32 v28, v28, v22
	v_dual_fmac_f32 v13, 0xbf167918, v27 :: v_dual_add_f32 v30, v14, v93
	s_delay_alu instid0(VALU_DEP_3) | instskip(SKIP_1) | instid1(VALU_DEP_4)
	v_fma_f32 v22, -0.5, v23, v14
	v_fmac_f32_e32 v17, 0x3e9e377a, v24
	v_fmac_f32_e32 v19, 0x3e9e377a, v28
	;; [unrolled: 1-line block ×3, first 2 shown]
	s_delay_alu instid0(VALU_DEP_4) | instskip(SKIP_3) | instid1(VALU_DEP_4)
	v_dual_add_f32 v23, v30, v94 :: v_dual_fmamk_f32 v24, v31, 0xbf737871, v22
	v_sub_f32_e32 v30, v96, v32
	v_sub_f32_e32 v26, v93, v94
	v_dual_sub_f32 v34, v25, v29 :: v_dual_fmac_f32 v13, 0x3e9e377a, v28
	v_add_f32_e32 v23, v23, v29
	v_add_f32_e32 v36, v93, v25
	v_fmac_f32_e32 v24, 0xbf167918, v30
	s_delay_alu instid0(VALU_DEP_4) | instskip(NEXT) | instid1(VALU_DEP_4)
	v_dual_add_f32 v27, v26, v34 :: v_dual_fmac_f32 v22, 0x3f737871, v31
	v_add_f32_e32 v28, v23, v25
	s_delay_alu instid0(VALU_DEP_4)
	v_fma_f32 v14, -0.5, v36, v14
	v_sub_f32_e32 v23, v94, v93
	v_sub_f32_e32 v34, v29, v25
	v_add_f32_e32 v36, v15, v95
	v_fmac_f32_e32 v22, 0x3f167918, v30
	v_dual_fmac_f32 v24, 0x3e9e377a, v27 :: v_dual_add_f32 v41, v101, v102
	s_delay_alu instid0(VALU_DEP_4)
	v_add_f32_e32 v34, v23, v34
	v_fma_f32 v23, -0.5, v37, v15
	v_fmamk_f32 v26, v30, 0x3f737871, v14
	v_fmac_f32_e32 v14, 0xbf737871, v30
	v_add_f32_e32 v30, v36, v96
	v_sub_f32_e32 v36, v93, v25
	v_dual_fmac_f32 v22, 0x3e9e377a, v27 :: v_dual_sub_f32 v37, v95, v96
	v_sub_f32_e32 v71, v104, v102
	s_delay_alu instid0(VALU_DEP_4) | instskip(NEXT) | instid1(VALU_DEP_4)
	v_add_f32_e32 v27, v30, v32
	v_fmamk_f32 v25, v36, 0x3f737871, v23
	v_dual_fmac_f32 v23, 0xbf737871, v36 :: v_dual_add_f32 v30, v95, v33
	v_fmac_f32_e32 v14, 0x3f167918, v31
	v_dual_sub_f32 v32, v32, v33 :: v_dual_add_f32 v73, v10, v103
	v_dual_sub_f32 v75, v106, v105 :: v_dual_add_f32 v76, v103, v106
	s_delay_alu instid0(VALU_DEP_4) | instskip(SKIP_4) | instid1(VALU_DEP_4)
	v_dual_fmac_f32 v15, -0.5, v30 :: v_dual_sub_f32 v30, v96, v95
	v_dual_fmac_f32 v26, 0xbf167918, v31 :: v_dual_sub_f32 v31, v94, v29
	v_add_f32_e32 v29, v27, v33
	v_dual_add_f32 v33, v98, v99 :: v_dual_sub_f32 v74, v107, v108
	v_add_f32_e32 v77, v107, v108
	v_fmac_f32_e32 v25, 0x3f167918, v31
	v_fmac_f32_e32 v26, 0x3e9e377a, v34
	;; [unrolled: 1-line block ×3, first 2 shown]
	v_dual_add_f32 v34, v37, v38 :: v_dual_fmamk_f32 v27, v31, 0xbf737871, v15
	v_fmac_f32_e32 v15, 0x3f737871, v31
	v_dual_fmac_f32 v23, 0xbf167918, v31 :: v_dual_sub_f32 v78, v109, v108
	s_delay_alu instid0(VALU_DEP_3) | instskip(NEXT) | instid1(VALU_DEP_4)
	v_fmac_f32_e32 v25, 0x3e9e377a, v34
	v_fmac_f32_e32 v27, 0x3f167918, v36
	s_delay_alu instid0(VALU_DEP_4) | instskip(SKIP_4) | instid1(VALU_DEP_4)
	v_fmac_f32_e32 v15, 0xbf167918, v36
	v_dual_add_f32 v37, v30, v32 :: v_dual_add_f32 v32, v8, v97
	v_fma_f32 v30, -0.5, v33, v8
	v_sub_f32_e32 v33, v100, v104
	v_fmac_f32_e32 v23, 0x3e9e377a, v34
	v_dual_sub_f32 v34, v97, v98 :: v_dual_fmac_f32 v15, 0x3e9e377a, v37
	s_delay_alu instid0(VALU_DEP_3) | instskip(NEXT) | instid1(VALU_DEP_2)
	v_dual_add_f32 v31, v32, v98 :: v_dual_fmamk_f32 v32, v33, 0xbf737871, v30
	v_dual_sub_f32 v38, v101, v102 :: v_dual_add_f32 v39, v34, v39
	v_fmac_f32_e32 v27, 0x3e9e377a, v37
	s_delay_alu instid0(VALU_DEP_3) | instskip(NEXT) | instid1(VALU_DEP_3)
	v_dual_add_f32 v31, v31, v99 :: v_dual_fmac_f32 v30, 0x3f737871, v33
	v_dual_fmac_f32 v32, 0xbf167918, v38 :: v_dual_sub_f32 v37, v99, v35
	v_add_f32_e32 v79, v4, v67
	s_delay_alu instid0(VALU_DEP_3) | instskip(SKIP_1) | instid1(VALU_DEP_4)
	v_dual_add_f32 v34, v31, v35 :: v_dual_sub_f32 v31, v98, v97
	v_fma_f32 v8, -0.5, v40, v8
	v_fmac_f32_e32 v32, 0x3e9e377a, v39
	v_add_f32_e32 v40, v9, v100
	v_add_f32_e32 v82, v67, v68
	;; [unrolled: 1-line block ×3, first 2 shown]
	v_fma_f32 v31, -0.5, v41, v9
	v_dual_sub_f32 v41, v97, v35 :: v_dual_fmac_f32 v30, 0x3f167918, v38
	v_fmamk_f32 v36, v38, 0x3f737871, v8
	v_fmac_f32_e32 v8, 0xbf737871, v38
	v_dual_sub_f32 v80, v62, v65 :: v_dual_sub_f32 v81, v68, v64
	s_delay_alu instid0(VALU_DEP_4)
	v_fmac_f32_e32 v30, 0x3e9e377a, v39
	v_dual_sub_f32 v39, v98, v99 :: v_dual_add_f32 v38, v40, v101
	v_fmac_f32_e32 v36, 0xbf167918, v33
	ds_store_b64 v255, v[20:21]
	ds_store_b64 v254, v[16:17] offset:952
	ds_store_b64 v254, v[18:19] offset:1904
	;; [unrolled: 1-line block ×5, first 2 shown]
	v_add_nc_u32_e32 v12, 0x198, v255
	v_add_nc_u32_e32 v3, 0x110, v255
	v_dual_add_f32 v35, v38, v102 :: v_dual_add_f32 v38, v100, v104
	s_delay_alu instid0(VALU_DEP_1) | instskip(NEXT) | instid1(VALU_DEP_2)
	v_dual_add_f32 v35, v35, v104 :: v_dual_add_nc_u32 v2, 0x800, v3
	v_fma_f32 v9, -0.5, v38, v9
	v_sub_f32_e32 v40, v100, v101
	v_sub_f32_e32 v38, v101, v100
	s_delay_alu instid0(VALU_DEP_2) | instskip(SKIP_3) | instid1(VALU_DEP_2)
	v_dual_add_f32 v40, v40, v71 :: v_dual_sub_f32 v71, v102, v104
	v_fmac_f32_e32 v8, 0x3f167918, v33
	v_fmamk_f32 v33, v41, 0x3f737871, v31
	v_fmac_f32_e32 v31, 0xbf737871, v41
	v_fmac_f32_e32 v33, 0x3f167918, v39
	;; [unrolled: 1-line block ×3, first 2 shown]
	s_delay_alu instid0(VALU_DEP_3) | instskip(SKIP_3) | instid1(VALU_DEP_2)
	v_fmac_f32_e32 v31, 0xbf167918, v39
	v_dual_add_f32 v71, v38, v71 :: v_dual_fmac_f32 v8, 0x3e9e377a, v37
	v_fmamk_f32 v37, v39, 0xbf737871, v9
	v_fmac_f32_e32 v9, 0x3f737871, v39
	v_fmac_f32_e32 v37, 0x3f167918, v41
	v_dual_add_f32 v72, v70, v105 :: v_dual_fmac_f32 v31, 0x3e9e377a, v40
	v_fmac_f32_e32 v33, 0x3e9e377a, v40
	s_delay_alu instid0(VALU_DEP_3) | instskip(NEXT) | instid1(VALU_DEP_3)
	v_fmac_f32_e32 v37, 0x3e9e377a, v71
	v_fma_f32 v38, -0.5, v72, v10
	v_sub_f32_e32 v72, v69, v109
	v_add_f32_e32 v39, v73, v70
	v_sub_f32_e32 v73, v103, v70
	v_fma_f32 v10, -0.5, v76, v10
	v_add_f32_e32 v76, v11, v69
	v_fmamk_f32 v40, v72, 0xbf737871, v38
	v_fmac_f32_e32 v38, 0x3f737871, v72
	v_fmac_f32_e32 v9, 0xbf167918, v41
	v_add_f32_e32 v39, v39, v105
	s_delay_alu instid0(VALU_DEP_4) | instskip(SKIP_1) | instid1(VALU_DEP_4)
	v_dual_add_f32 v41, v73, v75 :: v_dual_fmac_f32 v40, 0xbf167918, v74
	v_fmamk_f32 v73, v74, 0x3f737871, v10
	v_fmac_f32_e32 v9, 0x3e9e377a, v71
	v_fmac_f32_e32 v38, 0x3f167918, v74
	v_add_f32_e32 v71, v39, v106
	v_dual_sub_f32 v39, v70, v103 :: v_dual_fmac_f32 v10, 0xbf737871, v74
	s_delay_alu instid0(VALU_DEP_3) | instskip(SKIP_2) | instid1(VALU_DEP_3)
	v_dual_sub_f32 v75, v105, v106 :: v_dual_fmac_f32 v38, 0x3e9e377a, v41
	v_add_f32_e32 v74, v76, v107
	v_dual_sub_f32 v76, v103, v106 :: v_dual_fmac_f32 v73, 0xbf167918, v72
	v_dual_sub_f32 v70, v70, v105 :: v_dual_add_f32 v75, v39, v75
	v_fmac_f32_e32 v10, 0x3f167918, v72
	s_delay_alu instid0(VALU_DEP_4) | instskip(SKIP_3) | instid1(VALU_DEP_4)
	v_add_f32_e32 v72, v74, v108
	v_add_f32_e32 v74, v69, v109
	v_fma_f32 v39, -0.5, v77, v11
	v_dual_fmac_f32 v73, 0x3e9e377a, v75 :: v_dual_fmac_f32 v40, 0x3e9e377a, v41
	v_dual_sub_f32 v77, v69, v107 :: v_dual_add_f32 v72, v72, v109
	s_delay_alu instid0(VALU_DEP_3) | instskip(SKIP_1) | instid1(VALU_DEP_3)
	v_fmamk_f32 v41, v76, 0x3f737871, v39
	v_dual_fmac_f32 v10, 0x3e9e377a, v75 :: v_dual_fmac_f32 v11, -0.5, v74
	v_add_f32_e32 v75, v77, v78
	v_sub_f32_e32 v77, v108, v109
	s_delay_alu instid0(VALU_DEP_4) | instskip(NEXT) | instid1(VALU_DEP_4)
	v_dual_fmac_f32 v41, 0x3f167918, v70 :: v_dual_add_f32 v78, v63, v64
	v_dual_fmamk_f32 v74, v70, 0xbf737871, v11 :: v_dual_sub_f32 v69, v107, v69
	v_fmac_f32_e32 v39, 0xbf737871, v76
	v_fmac_f32_e32 v11, 0x3f737871, v70
	ds_store_b64 v254, v[24:25] offset:1088
	ds_store_b64 v254, v[26:27] offset:2040
	ds_store_b64 v254, v[14:15] offset:2992
	ds_store_b64 v254, v[22:23] offset:3944
	ds_store_2addr_b64 v3, v[32:33], v[36:37] offset0:119 offset1:238
	v_dual_fmac_f32 v74, 0x3f167918, v76 :: v_dual_add_f32 v77, v69, v77
	v_fma_f32 v69, -0.5, v78, v4
	v_sub_f32_e32 v78, v61, v66
	v_dual_fmac_f32 v39, 0xbf167918, v70 :: v_dual_add_f32 v70, v79, v63
	v_fma_f32 v4, -0.5, v82, v4
	v_sub_f32_e32 v79, v67, v63
	v_fmac_f32_e32 v11, 0xbf167918, v76
	s_delay_alu instid0(VALU_DEP_4) | instskip(SKIP_1) | instid1(VALU_DEP_4)
	v_dual_fmac_f32 v39, 0x3e9e377a, v75 :: v_dual_add_f32 v70, v70, v64
	v_dual_fmac_f32 v41, 0x3e9e377a, v75 :: v_dual_fmac_f32 v74, 0x3e9e377a, v77
	v_dual_add_f32 v76, v79, v81 :: v_dual_fmamk_f32 v79, v80, 0x3f737871, v4
	v_fmac_f32_e32 v4, 0xbf737871, v80
	v_fmac_f32_e32 v11, 0x3e9e377a, v77
	v_dual_add_f32 v77, v70, v68 :: v_dual_sub_f32 v70, v63, v67
	v_dual_fmamk_f32 v75, v78, 0xbf737871, v69 :: v_dual_add_f32 v82, v5, v61
	s_delay_alu instid0(VALU_DEP_4)
	v_dual_fmac_f32 v4, 0x3f167918, v78 :: v_dual_sub_f32 v67, v67, v68
	v_sub_f32_e32 v63, v63, v64
	v_dual_sub_f32 v81, v64, v68 :: v_dual_sub_f32 v64, v61, v62
	v_add_f32_e32 v83, v62, v65
	v_fmac_f32_e32 v75, 0xbf167918, v80
	v_fmac_f32_e32 v79, 0xbf167918, v78
	s_delay_alu instid0(VALU_DEP_4)
	v_add_f32_e32 v81, v70, v81
	ds_store_2addr_b64 v2, v[8:9], v[30:31] offset0:101 offset1:220
	ds_store_2addr_b64 v255, v[34:35], v[71:72] offset0:34 offset1:51
	v_fma_f32 v70, -0.5, v83, v5
	v_fmac_f32_e32 v69, 0x3f737871, v78
	v_dual_add_f32 v78, v61, v66 :: v_dual_fmac_f32 v75, 0x3e9e377a, v76
	v_dual_sub_f32 v61, v62, v61 :: v_dual_add_nc_u32 v8, 0x220, v255
	s_delay_alu instid0(VALU_DEP_3) | instskip(NEXT) | instid1(VALU_DEP_3)
	v_dual_fmac_f32 v69, 0x3f167918, v80 :: v_dual_add_f32 v80, v82, v62
	v_fma_f32 v5, -0.5, v78, v5
	v_dual_sub_f32 v62, v65, v66 :: v_dual_add_nc_u32 v3, 0x800, v12
	s_delay_alu instid0(VALU_DEP_4) | instskip(NEXT) | instid1(VALU_DEP_4)
	v_add_nc_u32_e32 v2, 0x800, v8
	v_add_f32_e32 v68, v80, v65
	v_sub_f32_e32 v80, v66, v65
	s_delay_alu instid0(VALU_DEP_4) | instskip(NEXT) | instid1(VALU_DEP_3)
	v_dual_add_f32 v65, v55, v57 :: v_dual_add_f32 v62, v61, v62
	v_add_f32_e32 v78, v68, v66
	v_dual_add_f32 v66, v6, v58 :: v_dual_fmac_f32 v69, 0x3e9e377a, v76
	v_fmamk_f32 v76, v67, 0x3f737871, v70
	v_add_f32_e32 v64, v64, v80
	v_fmac_f32_e32 v70, 0xbf737871, v67
	v_fmamk_f32 v80, v63, 0xbf737871, v5
	v_fmac_f32_e32 v4, 0x3e9e377a, v81
	v_fma_f32 v61, -0.5, v65, v6
	v_sub_f32_e32 v68, v53, v59
	v_sub_f32_e32 v65, v58, v55
	v_fmac_f32_e32 v80, 0x3f167918, v67
	v_fmac_f32_e32 v76, 0x3f167918, v63
	v_fmac_f32_e32 v70, 0xbf167918, v63
	v_fmac_f32_e32 v79, 0x3e9e377a, v81
	v_fmac_f32_e32 v5, 0x3f737871, v63
	s_delay_alu instid0(VALU_DEP_4) | instskip(NEXT) | instid1(VALU_DEP_4)
	v_dual_sub_f32 v81, v60, v57 :: v_dual_fmac_f32 v76, 0x3e9e377a, v64
	v_fmac_f32_e32 v70, 0x3e9e377a, v64
	v_dual_add_f32 v64, v66, v55 :: v_dual_fmamk_f32 v63, v68, 0xbf737871, v61
	v_sub_f32_e32 v66, v54, v56
	v_dual_add_f32 v82, v58, v60 :: v_dual_fmac_f32 v5, 0xbf167918, v67
	s_delay_alu instid0(VALU_DEP_3) | instskip(SKIP_1) | instid1(VALU_DEP_4)
	v_dual_add_f32 v64, v64, v57 :: v_dual_fmac_f32 v61, 0x3f737871, v68
	v_dual_fmac_f32 v80, 0x3e9e377a, v62 :: v_dual_add_f32 v81, v65, v81
	v_fmac_f32_e32 v63, 0xbf167918, v66
	s_delay_alu instid0(VALU_DEP_4)
	v_fma_f32 v6, -0.5, v82, v6
	v_fmac_f32_e32 v5, 0x3e9e377a, v62
	v_dual_add_f32 v65, v64, v60 :: v_dual_sub_f32 v62, v55, v58
	v_sub_f32_e32 v64, v57, v60
	v_dual_add_f32 v82, v7, v53 :: v_dual_fmac_f32 v61, 0x3f167918, v66
	v_dual_sub_f32 v58, v58, v60 :: v_dual_fmac_f32 v63, 0x3e9e377a, v81
	s_delay_alu instid0(VALU_DEP_3) | instskip(SKIP_1) | instid1(VALU_DEP_4)
	v_add_f32_e32 v84, v62, v64
	v_add_f32_e32 v83, v54, v56
	v_dual_add_f32 v64, v82, v54 :: v_dual_fmac_f32 v61, 0x3e9e377a, v81
	v_fmamk_f32 v67, v66, 0x3f737871, v6
	v_fmac_f32_e32 v6, 0xbf737871, v66
	s_delay_alu instid0(VALU_DEP_4) | instskip(NEXT) | instid1(VALU_DEP_4)
	v_fma_f32 v62, -0.5, v83, v7
	v_add_f32_e32 v60, v64, v56
	s_delay_alu instid0(VALU_DEP_4) | instskip(NEXT) | instid1(VALU_DEP_4)
	v_dual_add_f32 v66, v53, v59 :: v_dual_fmac_f32 v67, 0xbf167918, v68
	v_dual_fmac_f32 v6, 0x3f167918, v68 :: v_dual_sub_f32 v55, v55, v57
	s_delay_alu instid0(VALU_DEP_4) | instskip(NEXT) | instid1(VALU_DEP_3)
	v_dual_fmamk_f32 v64, v58, 0x3f737871, v62 :: v_dual_sub_f32 v57, v53, v54
	v_dual_sub_f32 v68, v59, v56 :: v_dual_fmac_f32 v7, -0.5, v66
	v_fmac_f32_e32 v62, 0xbf737871, v58
	s_delay_alu instid0(VALU_DEP_3) | instskip(NEXT) | instid1(VALU_DEP_3)
	v_dual_fmac_f32 v64, 0x3f167918, v55 :: v_dual_add_f32 v81, v48, v52
	v_dual_add_f32 v57, v57, v68 :: v_dual_fmamk_f32 v68, v55, 0xbf737871, v7
	s_delay_alu instid0(VALU_DEP_3) | instskip(SKIP_1) | instid1(VALU_DEP_3)
	v_fmac_f32_e32 v62, 0xbf167918, v55
	v_fmac_f32_e32 v7, 0x3f737871, v55
	v_dual_add_f32 v55, v0, v48 :: v_dual_fmac_f32 v64, 0x3e9e377a, v57
	v_dual_fmac_f32 v6, 0x3e9e377a, v84 :: v_dual_sub_f32 v53, v54, v53
	s_delay_alu instid0(VALU_DEP_2) | instskip(NEXT) | instid1(VALU_DEP_4)
	v_dual_fmac_f32 v62, 0x3e9e377a, v57 :: v_dual_add_f32 v57, v55, v47
	v_dual_sub_f32 v54, v56, v59 :: v_dual_fmac_f32 v7, 0xbf167918, v58
	v_dual_fmac_f32 v67, 0x3e9e377a, v84 :: v_dual_add_f32 v66, v60, v59
	s_delay_alu instid0(VALU_DEP_3) | instskip(SKIP_1) | instid1(VALU_DEP_4)
	v_add_f32_e32 v57, v57, v50
	v_add_f32_e32 v56, v47, v50
	v_dual_add_f32 v54, v53, v54 :: v_dual_sub_f32 v59, v48, v47
	ds_store_2addr_b64 v12, v[40:41], v[73:74] offset0:119 offset1:238
	ds_store_2addr_b64 v3, v[10:11], v[38:39] offset0:101 offset1:220
	;; [unrolled: 1-line block ×3, first 2 shown]
	v_add_f32_e32 v57, v57, v52
	v_fma_f32 v53, -0.5, v56, v0
	v_sub_f32_e32 v60, v52, v50
	v_fmac_f32_e32 v68, 0x3f167918, v58
	v_sub_f32_e32 v58, v46, v49
	v_sub_f32_e32 v56, v45, v51
	v_fma_f32 v0, -0.5, v81, v0
	v_dual_sub_f32 v81, v50, v52 :: v_dual_add_nc_u32 v8, 0x2a8, v255
	ds_store_2addr_b64 v2, v[4:5], v[69:70] offset0:101 offset1:220
	ds_store_2addr_b64 v255, v[77:78], v[65:66] offset0:68 offset1:85
	v_fmamk_f32 v55, v56, 0xbf737871, v53
	v_fmac_f32_e32 v7, 0x3e9e377a, v54
	v_add_nc_u32_e32 v4, 0x330, v255
	v_add_nc_u32_e32 v3, 0x800, v8
	s_delay_alu instid0(VALU_DEP_4) | instskip(SKIP_3) | instid1(VALU_DEP_3)
	v_fmac_f32_e32 v55, 0xbf167918, v58
	v_fmac_f32_e32 v53, 0x3f737871, v56
	v_dual_add_f32 v59, v59, v60 :: v_dual_fmac_f32 v68, 0x3e9e377a, v54
	v_add_f32_e32 v54, v46, v49
	v_dual_sub_f32 v60, v47, v48 :: v_dual_fmac_f32 v53, 0x3f167918, v58
	s_delay_alu instid0(VALU_DEP_3) | instskip(NEXT) | instid1(VALU_DEP_3)
	v_dual_fmac_f32 v55, 0x3e9e377a, v59 :: v_dual_sub_f32 v48, v48, v52
	v_fma_f32 v54, -0.5, v54, v1
	v_sub_f32_e32 v47, v47, v50
	s_delay_alu instid0(VALU_DEP_4) | instskip(SKIP_4) | instid1(VALU_DEP_4)
	v_fmac_f32_e32 v53, 0x3e9e377a, v59
	v_fmamk_f32 v59, v58, 0x3f737871, v0
	v_fmac_f32_e32 v0, 0xbf737871, v58
	v_add_f32_e32 v58, v1, v45
	v_add_f32_e32 v52, v60, v81
	v_dual_add_f32 v60, v45, v51 :: v_dual_fmac_f32 v59, 0xbf167918, v56
	s_delay_alu instid0(VALU_DEP_4) | instskip(NEXT) | instid1(VALU_DEP_4)
	v_fmac_f32_e32 v0, 0x3f167918, v56
	v_add_f32_e32 v58, v58, v46
	v_add_nc_u32_e32 v2, 0x800, v4
	s_delay_alu instid0(VALU_DEP_2)
	v_dual_fmac_f32 v59, 0x3e9e377a, v52 :: v_dual_add_f32 v50, v58, v49
	v_sub_f32_e32 v58, v51, v49
	v_fmac_f32_e32 v0, 0x3e9e377a, v52
	v_dual_sub_f32 v52, v45, v46 :: v_dual_sub_f32 v45, v46, v45
	v_dual_fmamk_f32 v56, v48, 0x3f737871, v54 :: v_dual_fmac_f32 v1, -0.5, v60
	v_fmac_f32_e32 v54, 0xbf737871, v48
	s_delay_alu instid0(VALU_DEP_2) | instskip(SKIP_1) | instid1(VALU_DEP_3)
	v_fmamk_f32 v60, v47, 0xbf737871, v1
	v_fmac_f32_e32 v1, 0x3f737871, v47
	v_fmac_f32_e32 v54, 0xbf167918, v47
	s_delay_alu instid0(VALU_DEP_3) | instskip(NEXT) | instid1(VALU_DEP_3)
	v_fmac_f32_e32 v60, 0x3f167918, v48
	v_dual_fmac_f32 v1, 0xbf167918, v48 :: v_dual_sub_f32 v46, v49, v51
	v_dual_add_f32 v49, v52, v58 :: v_dual_add_f32 v58, v50, v51
	s_delay_alu instid0(VALU_DEP_2) | instskip(NEXT) | instid1(VALU_DEP_2)
	v_dual_fmac_f32 v56, 0x3f167918, v47 :: v_dual_add_f32 v45, v45, v46
	v_fmac_f32_e32 v54, 0x3e9e377a, v49
	s_delay_alu instid0(VALU_DEP_2) | instskip(NEXT) | instid1(VALU_DEP_3)
	v_fmac_f32_e32 v56, 0x3e9e377a, v49
	v_fmac_f32_e32 v60, 0x3e9e377a, v45
	;; [unrolled: 1-line block ×3, first 2 shown]
	ds_store_2addr_b64 v8, v[63:64], v[67:68] offset0:119 offset1:238
	ds_store_2addr_b64 v3, v[6:7], v[61:62] offset0:101 offset1:220
	ds_store_b64 v255, v[57:58] offset:816
	ds_store_2addr_b64 v4, v[55:56], v[59:60] offset0:119 offset1:238
	ds_store_2addr_b64 v2, v[0:1], v[53:54] offset0:101 offset1:220
	global_wb scope:SCOPE_SE
	s_wait_dscnt 0x0
	s_barrier_signal -1
	s_barrier_wait -1
	global_inv scope:SCOPE_SE
	ds_load_2addr_b64 v[12:15], v255 offset1:17
	ds_load_2addr_b64 v[8:11], v255 offset0:68 offset1:85
	ds_load_2addr_b64 v[16:19], v255 offset0:170 offset1:187
	s_clause 0x5
	scratch_load_b64 v[2:3], off, off offset:280 th:TH_LOAD_LU
	scratch_load_b64 v[4:5], off, off offset:288 th:TH_LOAD_LU
	;; [unrolled: 1-line block ×6, first 2 shown]
	s_wait_loadcnt_dscnt 0x502
	v_mul_f32_e32 v0, v3, v13
	v_mul_f32_e32 v1, v3, v12
	s_wait_loadcnt_dscnt 0x401
	s_delay_alu instid0(VALU_DEP_2) | instskip(NEXT) | instid1(VALU_DEP_2)
	v_dual_mul_f32 v3, v5, v10 :: v_dual_fmac_f32 v0, v2, v12
	v_fma_f32 v1, v2, v13, -v1
	v_mul_f32_e32 v2, v5, v11
	s_wait_loadcnt 0x0
	v_mul_f32_e32 v56, v59, v15
	v_cvt_f64_f32_e32 v[20:21], v0
	v_fma_f32 v0, v4, v11, -v3
	v_fmac_f32_e32 v2, v4, v10
	scratch_load_b64 v[4:5], off, off offset:272 th:TH_LOAD_LU ; 8-byte Folded Reload
	v_cvt_f64_f32_e32 v[22:23], v1
	ds_load_2addr_b64 v[10:13], v42 offset0:84 offset1:101
	v_cvt_f64_f32_e32 v[26:27], v0
	v_cvt_f64_f32_e32 v[24:25], v2
	v_fmac_f32_e32 v56, v58, v14
	v_mul_f32_e32 v14, v59, v14
	s_clause 0x1
	scratch_load_b64 v[59:60], off, off offset:216 th:TH_LOAD_LU
	scratch_load_b32 v39, off, off th:TH_LOAD_LU
	v_fma_f32 v14, v58, v15, -v14
	s_wait_alu 0xfffe
	v_mul_f64_e32 v[37:38], s[4:5], v[22:23]
	s_wait_loadcnt_dscnt 0x201
	v_mul_f32_e32 v1, v5, v17
	v_mul_f32_e32 v3, v5, v16
	s_delay_alu instid0(VALU_DEP_2) | instskip(NEXT) | instid1(VALU_DEP_2)
	v_fmac_f32_e32 v1, v4, v16
	v_fma_f32 v0, v4, v17, -v3
	scratch_load_b64 v[4:5], off, off offset:160 th:TH_LOAD_LU ; 8-byte Folded Reload
	s_wait_loadcnt 0x1
	v_mad_co_u64_u32 v[32:33], null, s0, v39, 0
	v_cvt_f64_f32_e32 v[16:17], v1
	v_cvt_f64_f32_e32 v[28:29], v0
	ds_load_2addr_b64 v[0:3], v255 offset0:238 offset1:255
	v_mul_f32_e32 v58, v60, v19
	s_delay_alu instid0(VALU_DEP_1) | instskip(SKIP_2) | instid1(VALU_DEP_2)
	v_fmac_f32_e32 v58, v59, v18
	v_mul_f64_e32 v[16:17], s[4:5], v[16:17]
	v_mul_f64_e32 v[28:29], s[4:5], v[28:29]
	v_cvt_f32_f64_e32 v16, v[16:17]
	s_delay_alu instid0(VALU_DEP_2) | instskip(SKIP_4) | instid1(VALU_DEP_1)
	v_cvt_f32_f64_e32 v17, v[28:29]
	s_wait_loadcnt 0x0
	v_mov_b32_e32 v34, v4
	ds_load_2addr_b64 v[4:7], v42 offset0:152 offset1:169
	v_mad_co_u64_u32 v[30:31], null, s2, v34, 0
	v_mad_co_u64_u32 v[34:35], null, s3, v34, v[31:32]
	v_mul_f64_e32 v[35:36], s[4:5], v[20:21]
	ds_load_2addr_b64 v[20:23], v44 offset0:126 offset1:143
	v_mul_f64_e32 v[44:45], s[4:5], v[26:27]
	scratch_load_b64 v[26:27], off, off offset:256 th:TH_LOAD_LU ; 8-byte Folded Reload
	v_mov_b32_e32 v31, v33
	s_wait_dscnt 0x2
	v_mul_f32_e32 v33, v49, v3
	s_mul_u64 s[2:3], s[0:1], 0x2a8
	s_delay_alu instid0(VALU_DEP_2) | instskip(SKIP_1) | instid1(VALU_DEP_3)
	v_mad_co_u64_u32 v[39:40], null, s1, v39, v[31:32]
	v_mul_f64_e32 v[40:41], s[4:5], v[24:25]
	v_fmac_f32_e32 v33, v48, v2
	v_mul_f32_e32 v2, v49, v2
	v_dual_mul_f32 v24, v53, v11 :: v_dual_mov_b32 v31, v34
	s_delay_alu instid0(VALU_DEP_3) | instskip(NEXT) | instid1(VALU_DEP_3)
	v_cvt_f64_f32_e32 v[46:47], v33
	v_fma_f32 v2, v48, v3, -v2
	s_delay_alu instid0(VALU_DEP_3) | instskip(SKIP_2) | instid1(VALU_DEP_4)
	v_fmac_f32_e32 v24, v52, v10
	v_mul_f32_e32 v3, v53, v10
	v_mov_b32_e32 v33, v39
	v_cvt_f64_f32_e32 v[48:49], v2
	s_delay_alu instid0(VALU_DEP_4) | instskip(NEXT) | instid1(VALU_DEP_4)
	v_cvt_f64_f32_e32 v[50:51], v24
	v_fma_f32 v2, v52, v11, -v3
	v_cvt_f32_f64_e32 v34, v[35:36]
	v_cvt_f32_f64_e32 v35, v[37:38]
	;; [unrolled: 1-line block ×4, first 2 shown]
	v_mul_f64_e32 v[40:41], s[4:5], v[46:47]
	v_mul_f64_e32 v[44:45], s[4:5], v[48:49]
	;; [unrolled: 1-line block ×3, first 2 shown]
	s_wait_loadcnt_dscnt 0x1
	v_mul_f32_e32 v10, v27, v7
	v_mul_f32_e32 v25, v27, v6
	s_delay_alu instid0(VALU_DEP_2) | instskip(NEXT) | instid1(VALU_DEP_2)
	v_fmac_f32_e32 v10, v26, v6
	v_fma_f32 v3, v26, v7, -v25
	scratch_load_b64 v[26:27], off, off offset:240 th:TH_LOAD_LU ; 8-byte Folded Reload
	v_cvt_f64_f32_e32 v[6:7], v2
	v_cvt_f64_f32_e32 v[10:11], v10
	;; [unrolled: 1-line block ×3, first 2 shown]
	s_delay_alu instid0(VALU_DEP_3) | instskip(NEXT) | instid1(VALU_DEP_3)
	v_mul_f64_e32 v[6:7], s[4:5], v[6:7]
	v_mul_f64_e32 v[10:11], s[4:5], v[10:11]
	s_delay_alu instid0(VALU_DEP_3) | instskip(SKIP_1) | instid1(VALU_DEP_3)
	v_mul_f64_e32 v[48:49], s[4:5], v[52:53]
	v_cvt_f64_f32_e32 v[52:53], v56
	v_cvt_f32_f64_e32 v10, v[10:11]
	s_delay_alu instid0(VALU_DEP_3) | instskip(SKIP_3) | instid1(VALU_DEP_2)
	v_cvt_f32_f64_e32 v11, v[48:49]
	s_wait_loadcnt_dscnt 0x0
	v_mul_f32_e32 v25, v27, v20
	v_mul_f32_e32 v24, v27, v21
	v_fma_f32 v2, v26, v21, -v25
	s_delay_alu instid0(VALU_DEP_1) | instskip(SKIP_4) | instid1(VALU_DEP_2)
	v_cvt_f64_f32_e32 v[54:55], v2
	v_lshlrev_b64_e32 v[2:3], 3, v[30:31]
	ds_load_2addr_b64 v[28:31], v42 offset0:16 offset1:33
	v_fmac_f32_e32 v24, v26, v20
	v_add_co_u32 v2, vcc_lo, s8, v2
	v_cvt_f64_f32_e32 v[20:21], v24
	v_lshlrev_b64_e32 v[24:25], 3, v[32:33]
	s_wait_alu 0xfffd
	v_add_co_ci_u32_e32 v3, vcc_lo, s9, v3, vcc_lo
	s_delay_alu instid0(VALU_DEP_2) | instskip(SKIP_1) | instid1(VALU_DEP_2)
	v_add_co_u32 v32, vcc_lo, v2, v24
	s_wait_alu 0xfffd
	v_add_co_ci_u32_e32 v33, vcc_lo, v3, v25, vcc_lo
	ds_load_2addr_b64 v[24:27], v255 offset0:102 offset1:119
	s_wait_alu 0xfffe
	v_add_co_u32 v38, vcc_lo, v32, s2
	s_wait_alu 0xfffd
	v_add_co_ci_u32_e32 v39, vcc_lo, s3, v33, vcc_lo
	v_mul_f64_e32 v[50:51], s[4:5], v[54:55]
	v_cvt_f64_f32_e32 v[54:55], v14
	s_wait_dscnt 0x0
	v_mul_f32_e32 v57, v62, v25
	v_mul_f32_e32 v15, v62, v24
	scratch_load_b64 v[62:63], off, off offset:200 th:TH_LOAD_LU ; 8-byte Folded Reload
	v_dual_fmac_f32 v57, v61, v24 :: v_dual_mul_f32 v24, v60, v18
	v_fma_f32 v14, v61, v25, -v15
	v_mul_f64_e32 v[20:21], s[4:5], v[20:21]
	s_delay_alu instid0(VALU_DEP_3) | instskip(NEXT) | instid1(VALU_DEP_4)
	v_cvt_f64_f32_e32 v[56:57], v57
	v_fma_f32 v15, v59, v19, -v24
	s_delay_alu instid0(VALU_DEP_4) | instskip(SKIP_2) | instid1(VALU_DEP_4)
	v_cvt_f64_f32_e32 v[24:25], v14
	v_add_co_u32 v14, vcc_lo, v38, s2
	v_cvt_f64_f32_e32 v[58:59], v58
	v_cvt_f64_f32_e32 v[60:61], v15
	s_wait_alu 0xfffd
	v_add_co_ci_u32_e32 v15, vcc_lo, s3, v39, vcc_lo
	s_clause 0x2
	global_store_b64 v[32:33], v[34:35], off
	global_store_b64 v[38:39], v[36:37], off
	;; [unrolled: 1-line block ×3, first 2 shown]
	scratch_load_b64 v[64:65], off, off offset:192 th:TH_LOAD_LU ; 8-byte Folded Reload
	v_cvt_f32_f64_e32 v36, v[46:47]
	v_add_co_u32 v34, vcc_lo, v14, s2
	s_wait_alu 0xfffd
	v_add_co_ci_u32_e32 v35, vcc_lo, s3, v15, vcc_lo
	ds_load_2addr_b64 v[14:17], v42 offset0:186 offset1:203
	v_cvt_f32_f64_e32 v32, v[40:41]
	v_cvt_f32_f64_e32 v33, v[44:45]
	;; [unrolled: 1-line block ×3, first 2 shown]
	v_mul_f64_e32 v[44:45], s[4:5], v[52:53]
	v_add_co_u32 v6, vcc_lo, v34, s2
	s_wait_alu 0xfffd
	v_add_co_ci_u32_e32 v7, vcc_lo, s3, v35, vcc_lo
	v_cvt_f32_f64_e32 v41, v[50:51]
	v_mul_f64_e32 v[46:47], s[4:5], v[54:55]
	v_add_co_u32 v38, vcc_lo, v6, s2
	s_wait_alu 0xfffd
	v_add_co_ci_u32_e32 v39, vcc_lo, s3, v7, vcc_lo
	scratch_load_b64 v[68:69], off, off offset:168 th:TH_LOAD_LU ; 8-byte Folded Reload
	v_cvt_f32_f64_e32 v40, v[20:21]
	v_mul_f64_e32 v[48:49], s[4:5], v[56:57]
	v_mul_f64_e32 v[24:25], s[4:5], v[24:25]
	;; [unrolled: 1-line block ×4, first 2 shown]
	global_store_b64 v[34:35], v[32:33], off
	v_cvt_f32_f64_e32 v34, v[48:49]
	v_cvt_f32_f64_e32 v35, v[24:25]
	s_wait_loadcnt 0x2
	v_mul_f32_e32 v19, v63, v28
	v_mul_f32_e32 v18, v63, v29
	s_delay_alu instid0(VALU_DEP_2) | instskip(NEXT) | instid1(VALU_DEP_2)
	v_fma_f32 v19, v62, v29, -v19
	v_fmac_f32_e32 v18, v62, v28
	s_delay_alu instid0(VALU_DEP_2) | instskip(NEXT) | instid1(VALU_DEP_2)
	v_cvt_f64_f32_e32 v[62:63], v19
	v_cvt_f64_f32_e32 v[28:29], v18
	ds_load_2addr_b64 v[18:21], v255 offset0:34 offset1:51
	s_wait_loadcnt 0x1
	v_mul_f32_e32 v56, v65, v13
	v_mul_f32_e32 v54, v65, v12
	scratch_load_b64 v[65:66], off, off offset:184 th:TH_LOAD_LU ; 8-byte Folded Reload
	v_fmac_f32_e32 v56, v64, v12
	v_fma_f32 v12, v64, v13, -v54
	s_delay_alu instid0(VALU_DEP_2) | instskip(NEXT) | instid1(VALU_DEP_2)
	v_cvt_f64_f32_e32 v[56:57], v56
	v_cvt_f64_f32_e32 v[58:59], v12
	v_mul_f64_e32 v[54:55], s[4:5], v[62:63]
	scratch_load_b64 v[63:64], off, off offset:176 th:TH_LOAD_LU ; 8-byte Folded Reload
	v_mul_f64_e32 v[28:29], s[4:5], v[28:29]
	s_delay_alu instid0(VALU_DEP_1)
	v_cvt_f32_f64_e32 v28, v[28:29]
	v_cvt_f32_f64_e32 v29, v[54:55]
	s_wait_loadcnt_dscnt 0x101
	v_mul_f32_e32 v13, v66, v15
	v_mul_f32_e32 v12, v66, v14
	s_wait_dscnt 0x0
	v_mul_f32_e32 v66, v69, v19
	s_delay_alu instid0(VALU_DEP_3) | instskip(NEXT) | instid1(VALU_DEP_3)
	v_fmac_f32_e32 v13, v65, v14
	v_fma_f32 v12, v65, v15, -v12
	s_delay_alu instid0(VALU_DEP_3) | instskip(SKIP_1) | instid1(VALU_DEP_4)
	v_fmac_f32_e32 v66, v68, v18
	v_mul_f32_e32 v18, v69, v18
	v_cvt_f64_f32_e32 v[60:61], v13
	s_delay_alu instid0(VALU_DEP_3) | instskip(NEXT) | instid1(VALU_DEP_3)
	v_cvt_f64_f32_e32 v[66:67], v66
	v_fma_f32 v18, v68, v19, -v18
	s_delay_alu instid0(VALU_DEP_1) | instskip(SKIP_3) | instid1(VALU_DEP_2)
	v_cvt_f64_f32_e32 v[18:19], v18
	s_wait_loadcnt 0x0
	v_mul_f32_e32 v14, v64, v22
	v_mul_f32_e32 v62, v64, v23
	v_fma_f32 v13, v63, v23, -v14
	v_cvt_f64_f32_e32 v[14:15], v12
	v_add_co_u32 v12, vcc_lo, v38, s2
	s_delay_alu instid0(VALU_DEP_4) | instskip(NEXT) | instid1(VALU_DEP_4)
	v_fmac_f32_e32 v62, v63, v22
	v_cvt_f64_f32_e32 v[64:65], v13
	s_wait_alu 0xfffd
	v_add_co_ci_u32_e32 v13, vcc_lo, s3, v39, vcc_lo
	global_store_b64 v[6:7], v[36:37], off
	global_store_b64 v[38:39], v[10:11], off
	;; [unrolled: 1-line block ×3, first 2 shown]
	v_cvt_f32_f64_e32 v7, v[46:47]
	v_cvt_f64_f32_e32 v[62:63], v62
	v_add_co_u32 v32, vcc_lo, v12, s6
	s_wait_alu 0xfffd
	v_add_co_ci_u32_e32 v33, vcc_lo, s7, v13, vcc_lo
	v_mul_f64_e32 v[46:47], s[4:5], v[60:61]
	scratch_load_b64 v[60:61], off, off offset:152 th:TH_LOAD_LU ; 8-byte Folded Reload
	ds_load_2addr_b64 v[10:13], v255 offset0:204 offset1:221
	v_mul_f64_e32 v[40:41], s[4:5], v[56:57]
	scratch_load_b64 v[56:57], off, off offset:136 th:TH_LOAD_LU ; 8-byte Folded Reload
	v_cvt_f32_f64_e32 v6, v[44:45]
	v_cvt_f32_f64_e32 v38, v[50:51]
	v_cvt_f32_f64_e32 v39, v[52:53]
	v_mul_f64_e32 v[44:45], s[4:5], v[58:59]
	v_mul_f64_e32 v[54:55], s[4:5], v[66:67]
	ds_load_2addr_b64 v[22:25], v42 offset0:118 offset1:135
	v_add_co_u32 v36, vcc_lo, v32, s2
	s_wait_alu 0xfffd
	v_add_co_ci_u32_e32 v37, vcc_lo, s3, v33, vcc_lo
	v_mul_f64_e32 v[18:19], s[4:5], v[18:19]
	v_mul_f64_e32 v[48:49], s[4:5], v[14:15]
	;; [unrolled: 1-line block ×3, first 2 shown]
	scratch_load_b64 v[65:66], off, off offset:144 th:TH_LOAD_LU ; 8-byte Folded Reload
	v_mul_f64_e32 v[50:51], s[4:5], v[62:63]
	global_store_b64 v[32:33], v[6:7], off
	v_cvt_f32_f64_e32 v32, v[40:41]
	v_cvt_f32_f64_e32 v33, v[44:45]
	;; [unrolled: 1-line block ×5, first 2 shown]
	s_wait_loadcnt_dscnt 0x201
	v_mul_f32_e32 v58, v61, v11
	v_mul_f32_e32 v59, v61, v10
	scratch_load_b64 v[61:62], off, off offset:208 th:TH_LOAD_LU ; 8-byte Folded Reload
	s_wait_loadcnt 0x2
	v_mul_f32_e32 v14, v57, v27
	v_mul_f32_e32 v15, v57, v26
	v_fmac_f32_e32 v58, v60, v10
	s_delay_alu instid0(VALU_DEP_3) | instskip(NEXT) | instid1(VALU_DEP_3)
	v_fmac_f32_e32 v14, v56, v26
	v_fma_f32 v15, v56, v27, -v15
	s_delay_alu instid0(VALU_DEP_2) | instskip(NEXT) | instid1(VALU_DEP_2)
	v_cvt_f64_f32_e32 v[26:27], v14
	v_cvt_f64_f32_e32 v[56:57], v15
	v_fma_f32 v14, v60, v11, -v59
	v_cvt_f64_f32_e32 v[10:11], v58
	s_delay_alu instid0(VALU_DEP_2) | instskip(SKIP_1) | instid1(VALU_DEP_1)
	v_cvt_f64_f32_e32 v[58:59], v14
	v_mul_f64_e32 v[18:19], s[4:5], v[26:27]
	v_cvt_f32_f64_e32 v18, v[18:19]
	s_wait_loadcnt 0x0
	v_mul_f32_e32 v15, v62, v31
	v_mul_f32_e32 v60, v62, v30
	s_wait_dscnt 0x0
	s_delay_alu instid0(VALU_DEP_2) | instskip(NEXT) | instid1(VALU_DEP_2)
	v_dual_mul_f32 v62, v66, v23 :: v_dual_fmac_f32 v15, v61, v30
	v_fma_f32 v14, v61, v31, -v60
	s_delay_alu instid0(VALU_DEP_2)
	v_fmac_f32_e32 v62, v65, v22
	v_mul_f32_e32 v22, v66, v22
	scratch_load_b64 v[66:67], off, off offset:120 th:TH_LOAD_LU ; 8-byte Folded Reload
	v_cvt_f64_f32_e32 v[30:31], v15
	v_cvt_f64_f32_e32 v[60:61], v14
	;; [unrolled: 1-line block ×3, first 2 shown]
	v_fma_f32 v22, v65, v23, -v22
	v_add_co_u32 v14, vcc_lo, v36, s2
	s_wait_alu 0xfffd
	v_add_co_ci_u32_e32 v15, vcc_lo, s3, v37, vcc_lo
	s_delay_alu instid0(VALU_DEP_3) | instskip(SKIP_2) | instid1(VALU_DEP_3)
	v_cvt_f64_f32_e32 v[22:23], v22
	v_mul_f64_e32 v[30:31], s[4:5], v[30:31]
	v_mul_f64_e32 v[51:52], s[4:5], v[60:61]
	;; [unrolled: 1-line block ×3, first 2 shown]
	s_delay_alu instid0(VALU_DEP_3) | instskip(NEXT) | instid1(VALU_DEP_3)
	v_cvt_f32_f64_e32 v30, v[30:31]
	v_cvt_f32_f64_e32 v31, v[51:52]
	s_wait_loadcnt 0x0
	v_mul_f32_e32 v64, v67, v17
	s_delay_alu instid0(VALU_DEP_1) | instskip(SKIP_1) | instid1(VALU_DEP_2)
	v_fmac_f32_e32 v64, v66, v16
	v_mul_f32_e32 v16, v67, v16
	v_cvt_f64_f32_e32 v[64:65], v64
	s_delay_alu instid0(VALU_DEP_2)
	v_fma_f32 v16, v66, v17, -v16
	v_add_co_u32 v66, vcc_lo, v14, s2
	s_wait_alu 0xfffd
	v_add_co_ci_u32_e32 v67, vcc_lo, s3, v15, vcc_lo
	global_store_b64 v[36:37], v[34:35], off
	global_store_b64 v[14:15], v[38:39], off
	;; [unrolled: 1-line block ×3, first 2 shown]
	v_cvt_f64_f32_e32 v[6:7], v16
	ds_load_2addr_b64 v[14:17], v43 offset0:32 offset1:49
	v_cvt_f32_f64_e32 v36, v[46:47]
	v_cvt_f32_f64_e32 v37, v[48:49]
	;; [unrolled: 1-line block ×3, first 2 shown]
	v_mul_f64_e32 v[45:46], s[4:5], v[56:57]
	v_mul_f64_e32 v[49:50], s[4:5], v[58:59]
	v_mul_f64_e32 v[53:54], s[4:5], v[62:63]
	s_clause 0x1
	scratch_load_b64 v[57:58], off, off offset:128 th:TH_LOAD_LU
	scratch_load_b64 v[61:62], off, off offset:104 th:TH_LOAD_LU
	ds_load_2addr_b64 v[26:29], v255 offset0:136 offset1:153
	v_mul_f64_e32 v[47:48], s[4:5], v[10:11]
	v_add_co_u32 v34, vcc_lo, v66, s2
	s_wait_alu 0xfffd
	v_add_co_ci_u32_e32 v35, vcc_lo, s3, v67, vcc_lo
	s_delay_alu instid0(VALU_DEP_2) | instskip(SKIP_1) | instid1(VALU_DEP_2)
	v_add_co_u32 v38, vcc_lo, v34, s2
	s_wait_alu 0xfffd
	v_add_co_ci_u32_e32 v39, vcc_lo, s3, v35, vcc_lo
	v_mul_f64_e32 v[55:56], s[4:5], v[64:65]
	scratch_load_b64 v[64:65], off, off offset:88 th:TH_LOAD_LU ; 8-byte Folded Reload
	v_mul_f64_e32 v[6:7], s[4:5], v[6:7]
	v_cvt_f32_f64_e32 v19, v[45:46]
	s_wait_loadcnt_dscnt 0x201
	v_mul_f32_e32 v10, v58, v15
	v_mul_f32_e32 v11, v58, v14
	s_wait_loadcnt 0x1
	s_delay_alu instid0(VALU_DEP_2) | instskip(NEXT) | instid1(VALU_DEP_2)
	v_dual_mul_f32 v59, v62, v21 :: v_dual_fmac_f32 v10, v57, v14
	v_fma_f32 v11, v57, v15, -v11
	s_delay_alu instid0(VALU_DEP_2) | instskip(SKIP_1) | instid1(VALU_DEP_4)
	v_fmac_f32_e32 v59, v61, v20
	v_mul_f32_e32 v20, v62, v20
	v_cvt_f64_f32_e32 v[14:15], v10
	s_delay_alu instid0(VALU_DEP_4) | instskip(NEXT) | instid1(VALU_DEP_4)
	v_cvt_f64_f32_e32 v[57:58], v11
	v_cvt_f64_f32_e32 v[59:60], v59
	s_delay_alu instid0(VALU_DEP_4) | instskip(NEXT) | instid1(VALU_DEP_1)
	v_fma_f32 v10, v61, v21, -v20
	v_cvt_f64_f32_e32 v[20:21], v10
	v_add_co_u32 v10, vcc_lo, v38, s2
	s_wait_loadcnt_dscnt 0x0
	v_mul_f32_e32 v61, v65, v27
	v_mul_f32_e32 v11, v65, v26
	scratch_load_b64 v[65:66], off, off offset:96 th:TH_LOAD_LU ; 8-byte Folded Reload
	v_fmac_f32_e32 v61, v64, v26
	v_fma_f32 v64, v64, v27, -v11
	s_wait_alu 0xfffd
	v_add_co_ci_u32_e32 v11, vcc_lo, s3, v39, vcc_lo
	v_add_co_u32 v67, vcc_lo, v10, s6
	global_store_b64 v[34:35], v[32:33], off
	global_store_b64 v[38:39], v[36:37], off
	;; [unrolled: 1-line block ×3, first 2 shown]
	s_wait_alu 0xfffd
	v_add_co_ci_u32_e32 v68, vcc_lo, s7, v11, vcc_lo
	v_cvt_f32_f64_e32 v35, v[22:23]
	v_cvt_f32_f64_e32 v23, v[6:7]
	v_add_co_u32 v6, vcc_lo, v67, s2
	global_store_b64 v[67:68], v[43:44], off
	s_wait_alu 0xfffd
	v_add_co_ci_u32_e32 v7, vcc_lo, s3, v68, vcc_lo
	scratch_load_b64 v[67:68], off, off offset:112 th:TH_LOAD_LU ; 8-byte Folded Reload
	v_cvt_f64_f32_e32 v[26:27], v61
	v_cvt_f32_f64_e32 v32, v[47:48]
	v_cvt_f32_f64_e32 v33, v[49:50]
	;; [unrolled: 1-line block ×3, first 2 shown]
	v_mul_f64_e32 v[36:37], s[4:5], v[57:58]
	scratch_load_b32 v57, off, off offset:4 th:TH_LOAD_LU ; 4-byte Folded Reload
	v_cvt_f32_f64_e32 v22, v[55:56]
	v_mul_f64_e32 v[38:39], s[4:5], v[59:60]
	v_mul_f64_e32 v[14:15], s[4:5], v[14:15]
	;; [unrolled: 1-line block ×3, first 2 shown]
	v_add_co_u32 v20, vcc_lo, v6, s2
	s_wait_alu 0xfffd
	v_add_co_ci_u32_e32 v21, vcc_lo, s3, v7, vcc_lo
	s_delay_alu instid0(VALU_DEP_2) | instskip(SKIP_1) | instid1(VALU_DEP_2)
	v_add_co_u32 v53, vcc_lo, v20, s2
	s_wait_alu 0xfffd
	v_add_co_ci_u32_e32 v54, vcc_lo, s3, v21, vcc_lo
	s_delay_alu instid0(VALU_DEP_2) | instskip(SKIP_1) | instid1(VALU_DEP_2)
	v_add_co_u32 v55, vcc_lo, v53, s2
	s_wait_alu 0xfffd
	v_add_co_ci_u32_e32 v56, vcc_lo, s3, v54, vcc_lo
	v_mul_f64_e32 v[26:27], s[4:5], v[26:27]
	s_delay_alu instid0(VALU_DEP_1) | instskip(SKIP_3) | instid1(VALU_DEP_2)
	v_cvt_f32_f64_e32 v26, v[26:27]
	s_wait_loadcnt 0x2
	v_mul_f32_e32 v63, v66, v13
	v_mul_f32_e32 v62, v66, v12
	v_fmac_f32_e32 v63, v65, v12
	s_delay_alu instid0(VALU_DEP_2) | instskip(SKIP_1) | instid1(VALU_DEP_3)
	v_fma_f32 v12, v65, v13, -v62
	v_cvt_f64_f32_e32 v[61:62], v64
	v_cvt_f64_f32_e32 v[63:64], v63
	s_delay_alu instid0(VALU_DEP_3)
	v_cvt_f64_f32_e32 v[65:66], v12
	ds_load_2addr_b64 v[10:13], v42 offset0:50 offset1:67
	s_wait_loadcnt 0x0
	v_mad_co_u64_u32 v[43:44], null, s0, v57, 0
	s_wait_dscnt 0x0
	v_mul_f32_e32 v51, v68, v11
	s_delay_alu instid0(VALU_DEP_1) | instskip(SKIP_1) | instid1(VALU_DEP_2)
	v_fmac_f32_e32 v51, v67, v10
	v_mul_f32_e32 v10, v68, v10
	v_cvt_f64_f32_e32 v[51:52], v51
	v_mul_f64_e32 v[45:46], s[4:5], v[61:62]
	v_mul_f64_e32 v[47:48], s[4:5], v[63:64]
	;; [unrolled: 1-line block ×3, first 2 shown]
	s_delay_alu instid0(VALU_DEP_3)
	v_mad_co_u64_u32 v[57:58], null, s1, v57, v[44:45]
	v_add_co_u32 v58, vcc_lo, v55, s2
	s_wait_alu 0xfffd
	v_add_co_ci_u32_e32 v59, vcc_lo, s3, v56, vcc_lo
	global_store_b64 v[6:7], v[18:19], off
	global_store_b64 v[20:21], v[32:33], off
	;; [unrolled: 1-line block ×5, first 2 shown]
	ds_load_2addr_b64 v[18:21], v42 offset0:220 offset1:237
	v_cvt_f32_f64_e32 v23, v[40:41]
	v_cvt_f32_f64_e32 v27, v[45:46]
	s_clause 0x2
	scratch_load_b64 v[41:42], off, off offset:32 th:TH_LOAD_LU
	scratch_load_b64 v[53:54], off, off offset:16 th:TH_LOAD_LU
	;; [unrolled: 1-line block ×3, first 2 shown]
	v_mov_b32_e32 v44, v57
	v_cvt_f32_f64_e32 v6, v[14:15]
	v_cvt_f32_f64_e32 v7, v[36:37]
	v_fma_f32 v34, v67, v11, -v10
	v_cvt_f32_f64_e32 v10, v[47:48]
	v_lshlrev_b64_e32 v[14:15], 3, v[43:44]
	v_cvt_f32_f64_e32 v22, v[38:39]
	v_mad_co_u64_u32 v[30:31], null, 0xfffff340, s0, v[58:59]
	v_cvt_f32_f64_e32 v11, v[49:50]
	v_mul_f64_e32 v[32:33], s[4:5], v[51:52]
	v_cvt_f64_f32_e32 v[34:35], v34
	v_add_co_u32 v2, vcc_lo, v2, v14
	s_wait_alu 0xfffd
	v_add_co_ci_u32_e32 v3, vcc_lo, v3, v15, vcc_lo
	s_mulk_i32 s1, 0xf340
	scratch_load_b64 v[58:59], off, off offset:40 th:TH_LOAD_LU ; 8-byte Folded Reload
	s_wait_alu 0xfffe
	s_sub_co_i32 s0, s1, s0
	s_wait_alu 0xfffe
	v_add_nc_u32_e32 v31, s0, v31
	v_cvt_f32_f64_e32 v32, v[32:33]
	v_mul_f64_e32 v[34:35], s[4:5], v[34:35]
	s_delay_alu instid0(VALU_DEP_1)
	v_cvt_f32_f64_e32 v33, v[34:35]
	s_wait_loadcnt 0x3
	v_mul_f32_e32 v36, v42, v25
	v_mul_f32_e32 v37, v42, v24
	scratch_load_b64 v[42:43], off, off offset:56 th:TH_LOAD_LU ; 8-byte Folded Reload
	s_wait_loadcnt 0x2
	v_mul_f32_e32 v40, v46, v17
	v_mul_f32_e32 v49, v54, v0
	v_fmac_f32_e32 v36, v41, v24
	v_fma_f32 v24, v41, v25, -v37
	s_delay_alu instid0(VALU_DEP_4)
	v_fmac_f32_e32 v40, v45, v16
	v_mul_f32_e32 v16, v46, v16
	scratch_load_b64 v[46:47], off, off offset:24 th:TH_LOAD_LU ; 8-byte Folded Reload
	v_cvt_f64_f32_e32 v[24:25], v24
	v_fma_f32 v49, v53, v1, -v49
	v_cvt_f64_f32_e32 v[40:41], v40
	v_fma_f32 v16, v45, v17, -v16
	s_wait_loadcnt 0x2
	v_mul_f32_e32 v52, v59, v5
	s_delay_alu instid0(VALU_DEP_1) | instskip(SKIP_3) | instid1(VALU_DEP_1)
	v_fmac_f32_e32 v52, v58, v4
	v_mul_f32_e32 v4, v59, v4
	scratch_load_b64 v[59:60], off, off offset:64 th:TH_LOAD_LU ; 8-byte Folded Reload
	v_fma_f32 v4, v58, v5, -v4
	v_cvt_f64_f32_e32 v[4:5], v4
	v_mul_f64_e32 v[40:41], s[4:5], v[40:41]
	s_delay_alu instid0(VALU_DEP_2) | instskip(NEXT) | instid1(VALU_DEP_2)
	v_mul_f64_e32 v[4:5], s[4:5], v[4:5]
	v_cvt_f32_f64_e32 v40, v[40:41]
	s_wait_loadcnt_dscnt 0x200
	v_mul_f32_e32 v38, v43, v19
	v_mul_f32_e32 v39, v43, v18
	s_delay_alu instid0(VALU_DEP_2) | instskip(NEXT) | instid1(VALU_DEP_2)
	v_fmac_f32_e32 v38, v42, v18
	v_fma_f32 v39, v42, v19, -v39
	v_cvt_f64_f32_e32 v[18:19], v36
	s_wait_loadcnt 0x1
	v_mul_f32_e32 v42, v47, v9
	v_mul_f32_e32 v43, v47, v8
	scratch_load_b64 v[47:48], off, off offset:72 th:TH_LOAD_LU ; 8-byte Folded Reload
	v_cvt_f64_f32_e32 v[36:37], v38
	v_cvt_f64_f32_e32 v[38:39], v39
	v_fmac_f32_e32 v42, v46, v8
	v_fma_f32 v43, v46, v9, -v43
	v_cvt_f64_f32_e32 v[8:9], v16
	v_mul_f64_e32 v[14:15], s[4:5], v[18:19]
	v_mul_f64_e32 v[18:19], s[4:5], v[24:25]
	v_add_co_u32 v24, vcc_lo, v30, s2
	v_mul_f64_e32 v[36:37], s[4:5], v[36:37]
	v_mul_f64_e32 v[38:39], s[4:5], v[38:39]
	s_wait_alu 0xfffd
	v_add_co_ci_u32_e32 v25, vcc_lo, s3, v31, vcc_lo
	v_mul_f64_e32 v[8:9], s[4:5], v[8:9]
	v_add_co_u32 v58, vcc_lo, v24, s2
	v_cvt_f32_f64_e32 v14, v[14:15]
	v_cvt_f32_f64_e32 v15, v[18:19]
	;; [unrolled: 1-line block ×5, first 2 shown]
	s_wait_loadcnt 0x0
	v_mul_f32_e32 v44, v48, v29
	v_dual_mul_f32 v17, v48, v28 :: v_dual_mul_f32 v48, v54, v1
	scratch_load_b64 v[54:55], off, off offset:48 th:TH_LOAD_LU ; 8-byte Folded Reload
	v_fmac_f32_e32 v44, v47, v28
	v_fma_f32 v46, v47, v29, -v17
	v_cvt_f64_f32_e32 v[16:17], v42
	v_cvt_f64_f32_e32 v[28:29], v43
	v_fmac_f32_e32 v48, v53, v0
	v_cvt_f64_f32_e32 v[42:43], v44
	ds_load_b64 v[44:45], v255 offset:4624
	v_cvt_f64_f32_e32 v[46:47], v46
	v_cvt_f64_f32_e32 v[52:53], v52
	;; [unrolled: 1-line block ×3, first 2 shown]
	v_mul_f64_e32 v[16:17], s[4:5], v[16:17]
	v_mul_f64_e32 v[28:29], s[4:5], v[28:29]
	s_delay_alu instid0(VALU_DEP_3) | instskip(NEXT) | instid1(VALU_DEP_3)
	v_mul_f64_e32 v[0:1], s[4:5], v[0:1]
	v_cvt_f32_f64_e32 v8, v[16:17]
	s_delay_alu instid0(VALU_DEP_3) | instskip(NEXT) | instid1(VALU_DEP_3)
	v_cvt_f32_f64_e32 v9, v[28:29]
	v_cvt_f32_f64_e32 v0, v[0:1]
	s_wait_loadcnt 0x0
	v_mul_f32_e32 v50, v55, v13
	v_mul_f32_e32 v51, v55, v12
	;; [unrolled: 1-line block ×3, first 2 shown]
	s_delay_alu instid0(VALU_DEP_3) | instskip(NEXT) | instid1(VALU_DEP_3)
	v_fmac_f32_e32 v50, v54, v12
	v_fma_f32 v51, v54, v13, -v51
	v_mul_f32_e32 v54, v60, v21
	scratch_load_b64 v[60:61], off, off offset:80 th:TH_LOAD_LU ; 8-byte Folded Reload
	v_fma_f32 v55, v59, v21, -v55
	v_cvt_f64_f32_e32 v[12:13], v49
	v_cvt_f64_f32_e32 v[48:49], v50
	v_fmac_f32_e32 v54, v59, v20
	v_cvt_f64_f32_e32 v[50:51], v51
	s_wait_alu 0xfffd
	v_add_co_ci_u32_e32 v59, vcc_lo, s3, v25, vcc_lo
	global_store_b64 v[2:3], v[6:7], off
	global_store_b64 v[30:31], v[22:23], off
	;; [unrolled: 1-line block ×4, first 2 shown]
	v_cvt_f64_f32_e32 v[20:21], v54
	v_mul_f64_e32 v[2:3], s[4:5], v[42:43]
	v_mul_f64_e32 v[6:7], s[4:5], v[46:47]
	;; [unrolled: 1-line block ×3, first 2 shown]
	v_add_co_u32 v34, vcc_lo, v58, s2
	s_wait_alu 0xfffd
	v_add_co_ci_u32_e32 v35, vcc_lo, s3, v59, vcc_lo
	s_delay_alu instid0(VALU_DEP_2) | instskip(SKIP_1) | instid1(VALU_DEP_2)
	v_add_co_u32 v18, vcc_lo, v34, s2
	s_wait_alu 0xfffd
	v_add_co_ci_u32_e32 v19, vcc_lo, s3, v35, vcc_lo
	global_store_b64 v[34:35], v[32:33], off
	v_add_co_u32 v38, vcc_lo, v18, s2
	s_wait_alu 0xfffd
	v_add_co_ci_u32_e32 v39, vcc_lo, s3, v19, vcc_lo
	global_store_b64 v[18:19], v[14:15], off
	;; [unrolled: 4-line block ×3, first 2 shown]
	global_store_b64 v[16:17], v[40:41], off
	v_mul_f64_e32 v[10:11], s[4:5], v[12:13]
	v_mul_f64_e32 v[12:13], s[4:5], v[48:49]
	;; [unrolled: 1-line block ×4, first 2 shown]
	v_cvt_f32_f64_e32 v2, v[2:3]
	v_cvt_f32_f64_e32 v3, v[6:7]
	;; [unrolled: 1-line block ×8, first 2 shown]
	v_add_co_u32 v20, vcc_lo, v16, s6
	s_wait_alu 0xfffd
	v_add_co_ci_u32_e32 v21, vcc_lo, s7, v17, vcc_lo
	s_delay_alu instid0(VALU_DEP_2) | instskip(SKIP_1) | instid1(VALU_DEP_2)
	v_add_co_u32 v22, vcc_lo, v20, s2
	s_wait_alu 0xfffd
	v_add_co_ci_u32_e32 v23, vcc_lo, s3, v21, vcc_lo
	global_store_b64 v[20:21], v[8:9], off
	v_add_co_u32 v14, vcc_lo, v22, s2
	s_wait_alu 0xfffd
	v_add_co_ci_u32_e32 v15, vcc_lo, s3, v23, vcc_lo
	global_store_b64 v[22:23], v[2:3], off
	v_add_co_u32 v18, vcc_lo, v14, s2
	s_wait_alu 0xfffd
	v_add_co_ci_u32_e32 v19, vcc_lo, s3, v15, vcc_lo
	s_delay_alu instid0(VALU_DEP_2) | instskip(SKIP_1) | instid1(VALU_DEP_2)
	v_add_co_u32 v16, vcc_lo, v18, s2
	s_wait_alu 0xfffd
	v_add_co_ci_u32_e32 v17, vcc_lo, s3, v19, vcc_lo
	s_delay_alu instid0(VALU_DEP_2) | instskip(SKIP_1) | instid1(VALU_DEP_2)
	;; [unrolled: 4-line block ×3, first 2 shown]
	v_add_co_u32 v2, vcc_lo, v8, s2
	s_wait_alu 0xfffd
	v_add_co_ci_u32_e32 v3, vcc_lo, s3, v9, vcc_lo
	s_wait_loadcnt_dscnt 0x0
	v_mul_f32_e32 v56, v61, v45
	v_mul_f32_e32 v57, v61, v44
	s_delay_alu instid0(VALU_DEP_2) | instskip(NEXT) | instid1(VALU_DEP_2)
	v_fmac_f32_e32 v56, v60, v44
	v_fma_f32 v57, v60, v45, -v57
	v_cvt_f64_f32_e32 v[44:45], v55
	s_delay_alu instid0(VALU_DEP_3) | instskip(NEXT) | instid1(VALU_DEP_3)
	v_cvt_f64_f32_e32 v[54:55], v56
	v_cvt_f64_f32_e32 v[56:57], v57
	s_delay_alu instid0(VALU_DEP_3) | instskip(NEXT) | instid1(VALU_DEP_3)
	v_mul_f64_e32 v[26:27], s[4:5], v[44:45]
	v_mul_f64_e32 v[30:31], s[4:5], v[54:55]
	s_delay_alu instid0(VALU_DEP_3) | instskip(NEXT) | instid1(VALU_DEP_3)
	v_mul_f64_e32 v[42:43], s[4:5], v[56:57]
	v_cvt_f32_f64_e32 v5, v[26:27]
	s_delay_alu instid0(VALU_DEP_3) | instskip(NEXT) | instid1(VALU_DEP_3)
	v_cvt_f32_f64_e32 v12, v[30:31]
	v_cvt_f32_f64_e32 v13, v[42:43]
	global_store_b64 v[14:15], v[0:1], off
	global_store_b64 v[18:19], v[6:7], off
	;; [unrolled: 1-line block ×5, first 2 shown]
.LBB0_10:
	s_nop 0
	s_sendmsg sendmsg(MSG_DEALLOC_VGPRS)
	s_endpgm
	.section	.rodata,"a",@progbits
	.p2align	6, 0x0
	.amdhsa_kernel bluestein_single_back_len595_dim1_sp_op_CI_CI
		.amdhsa_group_segment_fixed_size 14280
		.amdhsa_private_segment_fixed_size 464
		.amdhsa_kernarg_size 104
		.amdhsa_user_sgpr_count 2
		.amdhsa_user_sgpr_dispatch_ptr 0
		.amdhsa_user_sgpr_queue_ptr 0
		.amdhsa_user_sgpr_kernarg_segment_ptr 1
		.amdhsa_user_sgpr_dispatch_id 0
		.amdhsa_user_sgpr_private_segment_size 0
		.amdhsa_wavefront_size32 1
		.amdhsa_uses_dynamic_stack 0
		.amdhsa_enable_private_segment 1
		.amdhsa_system_sgpr_workgroup_id_x 1
		.amdhsa_system_sgpr_workgroup_id_y 0
		.amdhsa_system_sgpr_workgroup_id_z 0
		.amdhsa_system_sgpr_workgroup_info 0
		.amdhsa_system_vgpr_workitem_id 0
		.amdhsa_next_free_vgpr 256
		.amdhsa_next_free_sgpr 20
		.amdhsa_reserve_vcc 1
		.amdhsa_float_round_mode_32 0
		.amdhsa_float_round_mode_16_64 0
		.amdhsa_float_denorm_mode_32 3
		.amdhsa_float_denorm_mode_16_64 3
		.amdhsa_fp16_overflow 0
		.amdhsa_workgroup_processor_mode 1
		.amdhsa_memory_ordered 1
		.amdhsa_forward_progress 0
		.amdhsa_round_robin_scheduling 0
		.amdhsa_exception_fp_ieee_invalid_op 0
		.amdhsa_exception_fp_denorm_src 0
		.amdhsa_exception_fp_ieee_div_zero 0
		.amdhsa_exception_fp_ieee_overflow 0
		.amdhsa_exception_fp_ieee_underflow 0
		.amdhsa_exception_fp_ieee_inexact 0
		.amdhsa_exception_int_div_zero 0
	.end_amdhsa_kernel
	.text
.Lfunc_end0:
	.size	bluestein_single_back_len595_dim1_sp_op_CI_CI, .Lfunc_end0-bluestein_single_back_len595_dim1_sp_op_CI_CI
                                        ; -- End function
	.section	.AMDGPU.csdata,"",@progbits
; Kernel info:
; codeLenInByte = 58132
; NumSgprs: 22
; NumVgprs: 256
; ScratchSize: 464
; MemoryBound: 0
; FloatMode: 240
; IeeeMode: 1
; LDSByteSize: 14280 bytes/workgroup (compile time only)
; SGPRBlocks: 2
; VGPRBlocks: 31
; NumSGPRsForWavesPerEU: 22
; NumVGPRsForWavesPerEU: 256
; Occupancy: 5
; WaveLimiterHint : 1
; COMPUTE_PGM_RSRC2:SCRATCH_EN: 1
; COMPUTE_PGM_RSRC2:USER_SGPR: 2
; COMPUTE_PGM_RSRC2:TRAP_HANDLER: 0
; COMPUTE_PGM_RSRC2:TGID_X_EN: 1
; COMPUTE_PGM_RSRC2:TGID_Y_EN: 0
; COMPUTE_PGM_RSRC2:TGID_Z_EN: 0
; COMPUTE_PGM_RSRC2:TIDIG_COMP_CNT: 0
	.text
	.p2alignl 7, 3214868480
	.fill 96, 4, 3214868480
	.type	__hip_cuid_3d73581f7cfbe604,@object ; @__hip_cuid_3d73581f7cfbe604
	.section	.bss,"aw",@nobits
	.globl	__hip_cuid_3d73581f7cfbe604
__hip_cuid_3d73581f7cfbe604:
	.byte	0                               ; 0x0
	.size	__hip_cuid_3d73581f7cfbe604, 1

	.ident	"AMD clang version 19.0.0git (https://github.com/RadeonOpenCompute/llvm-project roc-6.4.0 25133 c7fe45cf4b819c5991fe208aaa96edf142730f1d)"
	.section	".note.GNU-stack","",@progbits
	.addrsig
	.addrsig_sym __hip_cuid_3d73581f7cfbe604
	.amdgpu_metadata
---
amdhsa.kernels:
  - .args:
      - .actual_access:  read_only
        .address_space:  global
        .offset:         0
        .size:           8
        .value_kind:     global_buffer
      - .actual_access:  read_only
        .address_space:  global
        .offset:         8
        .size:           8
        .value_kind:     global_buffer
      - .actual_access:  read_only
        .address_space:  global
        .offset:         16
        .size:           8
        .value_kind:     global_buffer
      - .actual_access:  read_only
        .address_space:  global
        .offset:         24
        .size:           8
        .value_kind:     global_buffer
      - .actual_access:  read_only
        .address_space:  global
        .offset:         32
        .size:           8
        .value_kind:     global_buffer
      - .offset:         40
        .size:           8
        .value_kind:     by_value
      - .address_space:  global
        .offset:         48
        .size:           8
        .value_kind:     global_buffer
      - .address_space:  global
        .offset:         56
        .size:           8
        .value_kind:     global_buffer
      - .address_space:  global
        .offset:         64
        .size:           8
        .value_kind:     global_buffer
      - .address_space:  global
        .offset:         72
        .size:           8
        .value_kind:     global_buffer
      - .offset:         80
        .size:           4
        .value_kind:     by_value
      - .address_space:  global
        .offset:         88
        .size:           8
        .value_kind:     global_buffer
      - .address_space:  global
        .offset:         96
        .size:           8
        .value_kind:     global_buffer
    .group_segment_fixed_size: 14280
    .kernarg_segment_align: 8
    .kernarg_segment_size: 104
    .language:       OpenCL C
    .language_version:
      - 2
      - 0
    .max_flat_workgroup_size: 51
    .name:           bluestein_single_back_len595_dim1_sp_op_CI_CI
    .private_segment_fixed_size: 464
    .sgpr_count:     22
    .sgpr_spill_count: 0
    .symbol:         bluestein_single_back_len595_dim1_sp_op_CI_CI.kd
    .uniform_work_group_size: 1
    .uses_dynamic_stack: false
    .vgpr_count:     256
    .vgpr_spill_count: 117
    .wavefront_size: 32
    .workgroup_processor_mode: 1
amdhsa.target:   amdgcn-amd-amdhsa--gfx1201
amdhsa.version:
  - 1
  - 2
...

	.end_amdgpu_metadata
